;; amdgpu-corpus repo=ROCm/rocBLAS kind=compiled arch=gfx1201 opt=O3
	.amdgcn_target "amdgcn-amd-amdhsa--gfx1201"
	.amdhsa_code_object_version 6
	.section	.text._ZL25rocblas_symm_scale_kernelILi128ELi8EPKfPfEviiT1_T2_llli,"axG",@progbits,_ZL25rocblas_symm_scale_kernelILi128ELi8EPKfPfEviiT1_T2_llli,comdat
	.globl	_ZL25rocblas_symm_scale_kernelILi128ELi8EPKfPfEviiT1_T2_llli ; -- Begin function _ZL25rocblas_symm_scale_kernelILi128ELi8EPKfPfEviiT1_T2_llli
	.p2align	8
	.type	_ZL25rocblas_symm_scale_kernelILi128ELi8EPKfPfEviiT1_T2_llli,@function
_ZL25rocblas_symm_scale_kernelILi128ELi8EPKfPfEviiT1_T2_llli: ; @_ZL25rocblas_symm_scale_kernelILi128ELi8EPKfPfEviiT1_T2_llli
; %bb.0:
	s_load_b256 s[4:11], s[0:1], 0x8
	s_wait_kmcnt 0x0
	s_load_b32 s14, s[4:5], 0x0
	s_wait_kmcnt 0x0
	s_cmp_eq_f32 s14, 1.0
	s_cbranch_scc1 .LBB0_10
; %bb.1:
	s_load_b32 s15, s[0:1], 0x30
	s_lshr_b32 s16, ttmp7, 16
	s_wait_kmcnt 0x0
	s_cmp_ge_u32 s16, s15
	s_cbranch_scc1 .LBB0_10
; %bb.2:
	v_bfe_u32 v1, v0, 10, 10
	s_clause 0x1
	s_load_b64 s[2:3], s[0:1], 0x0
	s_load_b64 s[12:13], s[0:1], 0x28
	s_and_b32 s4, ttmp7, 0xffff
	v_and_b32_e32 v0, 0x3ff, v0
	v_lshl_add_u32 v1, s4, 3, v1
	v_mov_b32_e32 v2, 0
	s_delay_alu instid0(VALU_DEP_2) | instskip(NEXT) | instid1(VALU_DEP_2)
	v_mad_co_u64_u32 v[3:4], null, s10, v1, 0
	v_mov_b32_e32 v6, v2
	s_delay_alu instid0(VALU_DEP_2)
	v_mad_co_u64_u32 v[4:5], null, s11, v1, v[4:5]
	v_lshl_add_u32 v5, ttmp9, 7, v0
	s_wait_kmcnt 0x0
	s_ashr_i32 s5, s3, 31
	s_mov_b32 s4, s3
	s_wait_alu 0xfffe
	v_cmp_gt_i64_e32 vcc_lo, s[4:5], v[1:2]
	v_cmp_gt_u32_e64 s2, s2, v5
	v_lshlrev_b64_e32 v[3:4], 2, v[3:4]
	v_lshlrev_b64_e32 v[5:6], 2, v[5:6]
	s_and_b32 s17, s2, vcc_lo
	s_cmp_neq_f32 s14, 0
	s_cselect_b32 s18, -1, 0
	s_lshl_b64 s[2:3], s[8:9], 2
	s_lshl_b64 s[8:9], s[12:13], 2
	s_wait_alu 0xfffe
	v_add_co_u32 v0, vcc_lo, v3, s2
	s_delay_alu instid0(VALU_DEP_1)
	v_add_co_ci_u32_e64 v3, null, s3, v4, vcc_lo
	s_mov_b32 s3, 0
	v_add_co_u32 v0, vcc_lo, v0, v5
	s_wait_alu 0xfffd
	v_add_co_ci_u32_e64 v4, null, v3, v6, vcc_lo
	s_lshl_b64 s[10:11], s[10:11], 2
	v_add_co_u32 v3, vcc_lo, s6, v0
	s_wait_alu 0xfffd
	v_add_co_ci_u32_e64 v4, null, s7, v4, vcc_lo
	s_add_nc_u64 s[6:7], s[0:1], 56
	s_branch .LBB0_4
.LBB0_3:                                ;   in Loop: Header=BB0_4 Depth=1
	s_wait_alu 0xfffe
	s_or_b32 exec_lo, exec_lo, s1
	s_add_co_i32 s16, s16, 0x10000
	s_wait_alu 0xfffe
	s_cmp_lt_u32 s16, s15
	s_cbranch_scc0 .LBB0_10
.LBB0_4:                                ; =>This Loop Header: Depth=1
                                        ;     Child Loop BB0_8 Depth 2
	s_and_saveexec_b32 s1, s17
	s_cbranch_execz .LBB0_3
; %bb.5:                                ;   in Loop: Header=BB0_4 Depth=1
	s_load_b32 s0, s[6:7], 0x4
	v_mad_co_u64_u32 v[5:6], null, s8, s16, v[3:4]
	s_mov_b32 s19, 0
	v_mov_b32_e32 v0, v6
	s_delay_alu instid0(VALU_DEP_1)
	v_mad_co_u64_u32 v[6:7], null, s9, s16, v[0:1]
	v_dual_mov_b32 v8, v2 :: v_dual_mov_b32 v7, v1
	s_wait_kmcnt 0x0
	s_lshl_b32 s2, s0, 3
	s_wait_alu 0xfffe
	s_mul_u64 s[12:13], s[10:11], s[2:3]
	s_branch .LBB0_8
.LBB0_6:                                ;   in Loop: Header=BB0_8 Depth=2
	global_load_b32 v0, v[5:6], off
	s_wait_loadcnt 0x0
	v_mul_f32_e32 v0, s14, v0
.LBB0_7:                                ;   in Loop: Header=BB0_8 Depth=2
	v_add_co_u32 v7, vcc_lo, v7, s2
	s_wait_alu 0xfffd
	v_add_co_ci_u32_e64 v8, null, 0, v8, vcc_lo
	global_store_b32 v[5:6], v0, off
	v_add_co_u32 v5, s0, v5, s12
	v_cmp_le_i64_e32 vcc_lo, s[4:5], v[7:8]
	s_wait_alu 0xf1ff
	v_add_co_ci_u32_e64 v6, null, s13, v6, s0
	s_or_b32 s19, vcc_lo, s19
	s_delay_alu instid0(SALU_CYCLE_1)
	s_and_not1_b32 exec_lo, exec_lo, s19
	s_cbranch_execz .LBB0_3
.LBB0_8:                                ;   Parent Loop BB0_4 Depth=1
                                        ; =>  This Inner Loop Header: Depth=2
	s_and_not1_b32 vcc_lo, exec_lo, s18
	s_wait_alu 0xfffe
	s_cbranch_vccz .LBB0_6
; %bb.9:                                ;   in Loop: Header=BB0_8 Depth=2
	v_mov_b32_e32 v0, 0
	s_branch .LBB0_7
.LBB0_10:
	s_endpgm
	.section	.rodata,"a",@progbits
	.p2align	6, 0x0
	.amdhsa_kernel _ZL25rocblas_symm_scale_kernelILi128ELi8EPKfPfEviiT1_T2_llli
		.amdhsa_group_segment_fixed_size 0
		.amdhsa_private_segment_fixed_size 0
		.amdhsa_kernarg_size 312
		.amdhsa_user_sgpr_count 2
		.amdhsa_user_sgpr_dispatch_ptr 0
		.amdhsa_user_sgpr_queue_ptr 0
		.amdhsa_user_sgpr_kernarg_segment_ptr 1
		.amdhsa_user_sgpr_dispatch_id 0
		.amdhsa_user_sgpr_private_segment_size 0
		.amdhsa_wavefront_size32 1
		.amdhsa_uses_dynamic_stack 0
		.amdhsa_enable_private_segment 0
		.amdhsa_system_sgpr_workgroup_id_x 1
		.amdhsa_system_sgpr_workgroup_id_y 1
		.amdhsa_system_sgpr_workgroup_id_z 1
		.amdhsa_system_sgpr_workgroup_info 0
		.amdhsa_system_vgpr_workitem_id 1
		.amdhsa_next_free_vgpr 9
		.amdhsa_next_free_sgpr 20
		.amdhsa_reserve_vcc 1
		.amdhsa_float_round_mode_32 0
		.amdhsa_float_round_mode_16_64 0
		.amdhsa_float_denorm_mode_32 3
		.amdhsa_float_denorm_mode_16_64 3
		.amdhsa_fp16_overflow 0
		.amdhsa_workgroup_processor_mode 1
		.amdhsa_memory_ordered 1
		.amdhsa_forward_progress 1
		.amdhsa_inst_pref_size 4
		.amdhsa_round_robin_scheduling 0
		.amdhsa_exception_fp_ieee_invalid_op 0
		.amdhsa_exception_fp_denorm_src 0
		.amdhsa_exception_fp_ieee_div_zero 0
		.amdhsa_exception_fp_ieee_overflow 0
		.amdhsa_exception_fp_ieee_underflow 0
		.amdhsa_exception_fp_ieee_inexact 0
		.amdhsa_exception_int_div_zero 0
	.end_amdhsa_kernel
	.section	.text._ZL25rocblas_symm_scale_kernelILi128ELi8EPKfPfEviiT1_T2_llli,"axG",@progbits,_ZL25rocblas_symm_scale_kernelILi128ELi8EPKfPfEviiT1_T2_llli,comdat
.Lfunc_end0:
	.size	_ZL25rocblas_symm_scale_kernelILi128ELi8EPKfPfEviiT1_T2_llli, .Lfunc_end0-_ZL25rocblas_symm_scale_kernelILi128ELi8EPKfPfEviiT1_T2_llli
                                        ; -- End function
	.set _ZL25rocblas_symm_scale_kernelILi128ELi8EPKfPfEviiT1_T2_llli.num_vgpr, 9
	.set _ZL25rocblas_symm_scale_kernelILi128ELi8EPKfPfEviiT1_T2_llli.num_agpr, 0
	.set _ZL25rocblas_symm_scale_kernelILi128ELi8EPKfPfEviiT1_T2_llli.numbered_sgpr, 20
	.set _ZL25rocblas_symm_scale_kernelILi128ELi8EPKfPfEviiT1_T2_llli.num_named_barrier, 0
	.set _ZL25rocblas_symm_scale_kernelILi128ELi8EPKfPfEviiT1_T2_llli.private_seg_size, 0
	.set _ZL25rocblas_symm_scale_kernelILi128ELi8EPKfPfEviiT1_T2_llli.uses_vcc, 1
	.set _ZL25rocblas_symm_scale_kernelILi128ELi8EPKfPfEviiT1_T2_llli.uses_flat_scratch, 0
	.set _ZL25rocblas_symm_scale_kernelILi128ELi8EPKfPfEviiT1_T2_llli.has_dyn_sized_stack, 0
	.set _ZL25rocblas_symm_scale_kernelILi128ELi8EPKfPfEviiT1_T2_llli.has_recursion, 0
	.set _ZL25rocblas_symm_scale_kernelILi128ELi8EPKfPfEviiT1_T2_llli.has_indirect_call, 0
	.section	.AMDGPU.csdata,"",@progbits
; Kernel info:
; codeLenInByte = 500
; TotalNumSgprs: 22
; NumVgprs: 9
; ScratchSize: 0
; MemoryBound: 0
; FloatMode: 240
; IeeeMode: 1
; LDSByteSize: 0 bytes/workgroup (compile time only)
; SGPRBlocks: 0
; VGPRBlocks: 1
; NumSGPRsForWavesPerEU: 22
; NumVGPRsForWavesPerEU: 9
; Occupancy: 16
; WaveLimiterHint : 0
; COMPUTE_PGM_RSRC2:SCRATCH_EN: 0
; COMPUTE_PGM_RSRC2:USER_SGPR: 2
; COMPUTE_PGM_RSRC2:TRAP_HANDLER: 0
; COMPUTE_PGM_RSRC2:TGID_X_EN: 1
; COMPUTE_PGM_RSRC2:TGID_Y_EN: 1
; COMPUTE_PGM_RSRC2:TGID_Z_EN: 1
; COMPUTE_PGM_RSRC2:TIDIG_COMP_CNT: 1
	.section	.text._ZL24rocblas_symm_hemm_kernelILb0ELb0ELi32EPKfS1_PfEvbiiT2_T3_lllS4_lllT4_llli,"axG",@progbits,_ZL24rocblas_symm_hemm_kernelILb0ELb0ELi32EPKfS1_PfEvbiiT2_T3_lllS4_lllT4_llli,comdat
	.globl	_ZL24rocblas_symm_hemm_kernelILb0ELb0ELi32EPKfS1_PfEvbiiT2_T3_lllS4_lllT4_llli ; -- Begin function _ZL24rocblas_symm_hemm_kernelILb0ELb0ELi32EPKfS1_PfEvbiiT2_T3_lllS4_lllT4_llli
	.p2align	8
	.type	_ZL24rocblas_symm_hemm_kernelILb0ELb0ELi32EPKfS1_PfEvbiiT2_T3_lllS4_lllT4_llli,@function
_ZL24rocblas_symm_hemm_kernelILb0ELb0ELi32EPKfS1_PfEvbiiT2_T3_lllS4_lllT4_llli: ; @_ZL24rocblas_symm_hemm_kernelILb0ELb0ELi32EPKfS1_PfEvbiiT2_T3_lllS4_lllT4_llli
; %bb.0:
	s_load_b512 s[4:19], s[0:1], 0x10
	s_wait_kmcnt 0x0
	s_load_b32 s31, s[4:5], 0x0
	s_wait_kmcnt 0x0
	s_cmp_eq_f32 s31, 0
	s_cbranch_scc1 .LBB1_16
; %bb.1:
	s_load_b32 s33, s[0:1], 0x78
	s_lshr_b32 s4, ttmp7, 16
	s_wait_kmcnt 0x0
	s_cmp_ge_u32 s4, s33
	s_cbranch_scc1 .LBB1_16
; %bb.2:
	s_clause 0x1
	s_load_b96 s[28:30], s[0:1], 0x0
	s_load_b256 s[20:27], s[0:1], 0x50
	v_bfe_u32 v5, v0, 10, 10
	v_and_b32_e32 v6, 0x3ff, v0
	s_lshl_b64 s[2:3], s[8:9], 2
	s_load_b64 s[8:9], s[0:1], 0x70
	s_lshl_b64 s[16:17], s[16:17], 2
	v_lshlrev_b32_e32 v1, 2, v5
	v_lshlrev_b32_e32 v7, 7, v6
	v_lshl_add_u32 v0, ttmp9, 5, v6
	s_add_nc_u64 s[6:7], s[6:7], s[2:3]
	s_add_nc_u64 s[14:15], s[14:15], s[16:17]
	v_or_b32_e32 v8, 0x1000, v1
	v_add_nc_u32_e32 v9, v7, v1
	v_ashrrev_i32_e32 v1, 31, v0
	s_add_nc_u64 s[16:17], s[0:1], 0x80
	s_delay_alu instid0(VALU_DEP_3) | instskip(SKIP_1) | instid1(VALU_DEP_3)
	v_add_nc_u32_e32 v10, v8, v7
	v_add_nc_u32_e32 v13, 0x400, v8
	v_lshlrev_b64_e32 v[1:2], 2, v[0:1]
	s_wait_kmcnt 0x0
	s_bitcmp1_b32 s28, 0
	v_cmp_gt_i32_e64 s3, s29, v0
	s_cselect_b32 s2, -1, 0
	s_add_co_i32 s5, s30, -1
	s_lshl_b64 s[24:25], s[24:25], 2
	s_ashr_i32 s28, s5, 31
	s_add_nc_u64 s[22:23], s[22:23], s[24:25]
	s_wait_alu 0xfffe
	s_lshr_b32 s28, s28, 27
	v_add_co_u32 v11, vcc_lo, s22, v1
	s_wait_alu 0xfffe
	s_add_co_i32 s5, s5, s28
	s_and_b32 s28, ttmp7, 0xffff
	s_ashr_i32 s34, s5, 5
	v_add_co_ci_u32_e64 v12, null, s23, v2, vcc_lo
	s_wait_alu 0xfffe
	s_cmp_le_i32 s28, s34
	v_add_nc_u32_e32 v14, 0x800, v8
	v_add_nc_u32_e32 v15, 0xc00, v8
	s_cselect_b32 s35, -1, 0
	s_cmp_gt_i32 s29, 0
	s_mov_b32 s5, 0
	s_cselect_b32 s36, -1, 0
	s_branch .LBB1_4
.LBB1_3:                                ;   in Loop: Header=BB1_4 Depth=1
	s_add_co_i32 s4, s4, 0x10000
	s_delay_alu instid0(SALU_CYCLE_1)
	s_cmp_lt_u32 s4, s33
	s_cbranch_scc0 .LBB1_16
.LBB1_4:                                ; =>This Loop Header: Depth=1
                                        ;     Child Loop BB1_7 Depth 2
                                        ;       Child Loop BB1_10 Depth 3
	s_and_not1_b32 vcc_lo, exec_lo, s35
	s_wait_alu 0xfffe
	s_cbranch_vccnz .LBB1_3
; %bb.5:                                ;   in Loop: Header=BB1_4 Depth=1
	s_load_b32 s1, s[16:17], 0x4
	s_mul_u64 s[38:39], s[8:9], s[4:5]
	s_mul_u64 s[22:23], s[12:13], s[4:5]
	s_wait_alu 0xfffe
	s_lshl_b64 s[38:39], s[38:39], 2
	s_mul_u64 s[24:25], s[20:21], s[4:5]
	s_wait_alu 0xfffe
	v_add_co_u32 v16, vcc_lo, v11, s38
	s_wait_alu 0xfffd
	v_add_co_ci_u32_e64 v17, null, s39, v12, vcc_lo
	s_lshl_b64 s[22:23], s[22:23], 2
	s_lshl_b64 s[24:25], s[24:25], 2
	s_wait_alu 0xfffe
	s_add_nc_u64 s[22:23], s[6:7], s[22:23]
	s_add_nc_u64 s[24:25], s[14:15], s[24:25]
	s_mov_b32 s37, s28
	s_branch .LBB1_7
.LBB1_6:                                ;   in Loop: Header=BB1_7 Depth=2
	s_wait_kmcnt 0x0
	s_add_co_i32 s37, s37, s1
	s_wait_alu 0xfffe
	s_cmp_gt_i32 s37, s34
	s_cbranch_scc1 .LBB1_3
.LBB1_7:                                ;   Parent Loop BB1_4 Depth=1
                                        ; =>  This Loop Header: Depth=2
                                        ;       Child Loop BB1_10 Depth 3
	s_and_not1_b32 vcc_lo, exec_lo, s36
	s_wait_alu 0xfffe
	s_cbranch_vccnz .LBB1_6
; %bb.8:                                ;   in Loop: Header=BB1_7 Depth=2
	v_lshl_add_u32 v18, s37, 5, v5
	s_mov_b32 s39, 0
	s_delay_alu instid0(VALU_DEP_1) | instskip(SKIP_3) | instid1(VALU_DEP_4)
	v_ashrrev_i32_e32 v19, 31, v18
	v_mul_lo_u32 v20, s19, v18
	v_mad_co_u64_u32 v[1:2], null, s18, v18, 0
	v_mul_lo_u32 v22, s27, v18
	v_mul_lo_u32 v21, s18, v19
	v_mad_co_u64_u32 v[3:4], null, s26, v18, 0
	v_mul_lo_u32 v19, s26, v19
	v_cmp_gt_i32_e32 vcc_lo, s30, v18
	s_delay_alu instid0(VALU_DEP_4) | instskip(SKIP_1) | instid1(VALU_DEP_3)
	v_add3_u32 v2, v2, v21, v20
	s_and_b32 s38, s3, vcc_lo
	v_add3_u32 v4, v4, v19, v22
	s_delay_alu instid0(VALU_DEP_2) | instskip(NEXT) | instid1(VALU_DEP_2)
	v_lshlrev_b64_e32 v[1:2], 2, v[1:2]
	v_lshlrev_b64_e32 v[3:4], 2, v[3:4]
	s_delay_alu instid0(VALU_DEP_2) | instskip(SKIP_1) | instid1(VALU_DEP_3)
	v_add_co_u32 v18, s0, s24, v1
	s_wait_alu 0xf1ff
	v_add_co_ci_u32_e64 v19, null, s25, v2, s0
	s_delay_alu instid0(VALU_DEP_3)
	v_add_co_u32 v1, s0, v16, v3
	s_wait_alu 0xf1ff
	v_add_co_ci_u32_e64 v2, null, v17, v4, s0
	s_branch .LBB1_10
.LBB1_9:                                ;   in Loop: Header=BB1_10 Depth=3
	s_wait_alu 0xfffe
	s_or_b32 exec_lo, exec_lo, s0
	s_add_co_i32 s39, s39, 32
	s_wait_loadcnt 0x0
	s_wait_storecnt 0x0
	s_wait_alu 0xfffe
	s_cmp_ge_i32 s39, s29
	s_barrier_signal -1
	s_barrier_wait -1
	global_inv scope:SCOPE_SE
	s_cbranch_scc1 .LBB1_6
.LBB1_10:                               ;   Parent Loop BB1_4 Depth=1
                                        ;     Parent Loop BB1_7 Depth=2
                                        ; =>    This Inner Loop Header: Depth=3
	s_wait_alu 0xfffe
	v_add_nc_u32_e32 v4, s39, v5
	s_delay_alu instid0(VALU_DEP_1) | instskip(SKIP_1) | instid1(VALU_DEP_1)
	v_cndmask_b32_e64 v3, v4, v0, s2
	v_cndmask_b32_e64 v20, v0, v4, s2
	v_cmp_gt_i32_e64 s0, v3, v20
	v_mov_b32_e32 v20, 0
	s_wait_alu 0xf1ff
	s_delay_alu instid0(VALU_DEP_2) | instskip(SKIP_1) | instid1(VALU_DEP_1)
	v_cndmask_b32_e64 v3, v0, v4, s0
	v_cndmask_b32_e64 v4, v4, v0, s0
	v_max_i32_e32 v21, v3, v4
	s_delay_alu instid0(VALU_DEP_1)
	v_cmp_gt_i32_e64 s0, s29, v21
	v_mov_b32_e32 v21, 0
	s_and_saveexec_b32 s40, s0
	s_cbranch_execz .LBB1_12
; %bb.11:                               ;   in Loop: Header=BB1_10 Depth=3
	v_ashrrev_i32_e32 v23, 31, v4
	v_mul_lo_u32 v24, s11, v4
	v_mad_co_u64_u32 v[21:22], null, s10, v4, 0
	s_delay_alu instid0(VALU_DEP_3) | instskip(NEXT) | instid1(VALU_DEP_1)
	v_mul_lo_u32 v4, s10, v23
	v_add3_u32 v22, v22, v4, v24
	v_ashrrev_i32_e32 v4, 31, v3
	s_delay_alu instid0(VALU_DEP_2) | instskip(NEXT) | instid1(VALU_DEP_2)
	v_lshlrev_b64_e32 v[21:22], 2, v[21:22]
	v_lshlrev_b64_e32 v[3:4], 2, v[3:4]
	s_delay_alu instid0(VALU_DEP_2) | instskip(SKIP_1) | instid1(VALU_DEP_3)
	v_add_co_u32 v21, s0, s22, v21
	s_wait_alu 0xf1ff
	v_add_co_ci_u32_e64 v22, null, s23, v22, s0
	s_delay_alu instid0(VALU_DEP_2) | instskip(SKIP_1) | instid1(VALU_DEP_2)
	v_add_co_u32 v3, s0, v21, v3
	s_wait_alu 0xf1ff
	v_add_co_ci_u32_e64 v4, null, v22, v4, s0
	global_load_b32 v21, v[3:4], off
.LBB1_12:                               ;   in Loop: Header=BB1_10 Depth=3
	s_or_b32 exec_lo, exec_lo, s40
	v_add_nc_u32_e32 v3, s39, v6
	s_wait_loadcnt 0x0
	ds_store_b32 v9, v21
	v_cmp_gt_i32_e64 s0, s29, v3
	s_and_b32 s0, s0, vcc_lo
	s_wait_alu 0xfffe
	s_and_saveexec_b32 s40, s0
	s_cbranch_execz .LBB1_14
; %bb.13:                               ;   in Loop: Header=BB1_10 Depth=3
	v_ashrrev_i32_e32 v4, 31, v3
	s_delay_alu instid0(VALU_DEP_1) | instskip(NEXT) | instid1(VALU_DEP_1)
	v_lshlrev_b64_e32 v[3:4], 2, v[3:4]
	v_add_co_u32 v3, s0, v18, v3
	s_wait_alu 0xf1ff
	s_delay_alu instid0(VALU_DEP_2)
	v_add_co_ci_u32_e64 v4, null, v19, v4, s0
	global_load_b32 v20, v[3:4], off
.LBB1_14:                               ;   in Loop: Header=BB1_10 Depth=3
	s_or_b32 exec_lo, exec_lo, s40
	s_wait_loadcnt 0x0
	ds_store_b32 v10, v20
	s_wait_dscnt 0x0
	s_barrier_signal -1
	s_barrier_wait -1
	global_inv scope:SCOPE_SE
	s_and_saveexec_b32 s0, s38
	s_cbranch_execz .LBB1_9
; %bb.15:                               ;   in Loop: Header=BB1_10 Depth=3
	global_load_b32 v32, v[1:2], off
	ds_load_b128 v[20:23], v7
	ds_load_2addr_b32 v[3:4], v8 offset1:32
	ds_load_2addr_b32 v[28:29], v8 offset0:64 offset1:96
	ds_load_b128 v[24:27], v7 offset:16
	ds_load_2addr_b32 v[30:31], v8 offset0:128 offset1:160
	s_wait_dscnt 0x3
	v_fma_f32 v33, v20, v3, 0
	s_delay_alu instid0(VALU_DEP_1) | instskip(SKIP_3) | instid1(VALU_DEP_1)
	v_fmac_f32_e32 v33, v21, v4
	ds_load_2addr_b32 v[3:4], v8 offset0:192 offset1:224
	s_wait_dscnt 0x3
	v_fmac_f32_e32 v33, v22, v28
	v_fmac_f32_e32 v33, v23, v29
	ds_load_b128 v[20:23], v7 offset:32
	ds_load_2addr_b32 v[28:29], v13 offset1:32
	s_wait_dscnt 0x3
	v_fmac_f32_e32 v33, v24, v30
	s_delay_alu instid0(VALU_DEP_1) | instskip(SKIP_3) | instid1(VALU_DEP_1)
	v_fmac_f32_e32 v33, v25, v31
	ds_load_2addr_b32 v[30:31], v13 offset0:64 offset1:96
	s_wait_dscnt 0x3
	v_fmac_f32_e32 v33, v26, v3
	v_fmac_f32_e32 v33, v27, v4
	ds_load_b128 v[24:27], v7 offset:48
	ds_load_2addr_b32 v[3:4], v13 offset0:128 offset1:160
	s_wait_dscnt 0x3
	v_fmac_f32_e32 v33, v20, v28
	s_delay_alu instid0(VALU_DEP_1) | instskip(SKIP_3) | instid1(VALU_DEP_1)
	v_fmac_f32_e32 v33, v21, v29
	ds_load_2addr_b32 v[28:29], v13 offset0:192 offset1:224
	s_wait_dscnt 0x3
	v_fmac_f32_e32 v33, v22, v30
	v_fmac_f32_e32 v33, v23, v31
	ds_load_b128 v[20:23], v7 offset:64
	ds_load_2addr_b32 v[30:31], v14 offset1:32
	s_wait_dscnt 0x3
	v_fmac_f32_e32 v33, v24, v3
	s_delay_alu instid0(VALU_DEP_1) | instskip(SKIP_3) | instid1(VALU_DEP_1)
	v_fmac_f32_e32 v33, v25, v4
	ds_load_2addr_b32 v[3:4], v14 offset0:64 offset1:96
	s_wait_dscnt 0x3
	v_fmac_f32_e32 v33, v26, v28
	v_fmac_f32_e32 v33, v27, v29
	ds_load_b128 v[24:27], v7 offset:80
	ds_load_2addr_b32 v[28:29], v14 offset0:128 offset1:160
	s_wait_dscnt 0x3
	v_fmac_f32_e32 v33, v20, v30
	;; [unrolled: 20-line block ×3, first 2 shown]
	s_delay_alu instid0(VALU_DEP_1) | instskip(SKIP_3) | instid1(VALU_DEP_1)
	v_fmac_f32_e32 v33, v21, v4
	ds_load_2addr_b32 v[3:4], v15 offset0:192 offset1:224
	s_wait_dscnt 0x3
	v_fmac_f32_e32 v33, v22, v28
	v_fmac_f32_e32 v33, v23, v29
	s_wait_dscnt 0x1
	s_delay_alu instid0(VALU_DEP_1) | instskip(NEXT) | instid1(VALU_DEP_1)
	v_fmac_f32_e32 v33, v24, v30
	v_fmac_f32_e32 v33, v25, v31
	s_wait_dscnt 0x0
	s_delay_alu instid0(VALU_DEP_1) | instskip(NEXT) | instid1(VALU_DEP_1)
	v_fmac_f32_e32 v33, v26, v3
	v_fmac_f32_e32 v33, v27, v4
	s_wait_loadcnt 0x0
	s_delay_alu instid0(VALU_DEP_1)
	v_fmac_f32_e32 v32, s31, v33
	global_store_b32 v[1:2], v32, off
	s_branch .LBB1_9
.LBB1_16:
	s_endpgm
	.section	.rodata,"a",@progbits
	.p2align	6, 0x0
	.amdhsa_kernel _ZL24rocblas_symm_hemm_kernelILb0ELb0ELi32EPKfS1_PfEvbiiT2_T3_lllS4_lllT4_llli
		.amdhsa_group_segment_fixed_size 8192
		.amdhsa_private_segment_fixed_size 0
		.amdhsa_kernarg_size 384
		.amdhsa_user_sgpr_count 2
		.amdhsa_user_sgpr_dispatch_ptr 0
		.amdhsa_user_sgpr_queue_ptr 0
		.amdhsa_user_sgpr_kernarg_segment_ptr 1
		.amdhsa_user_sgpr_dispatch_id 0
		.amdhsa_user_sgpr_private_segment_size 0
		.amdhsa_wavefront_size32 1
		.amdhsa_uses_dynamic_stack 0
		.amdhsa_enable_private_segment 0
		.amdhsa_system_sgpr_workgroup_id_x 1
		.amdhsa_system_sgpr_workgroup_id_y 1
		.amdhsa_system_sgpr_workgroup_id_z 1
		.amdhsa_system_sgpr_workgroup_info 0
		.amdhsa_system_vgpr_workitem_id 1
		.amdhsa_next_free_vgpr 34
		.amdhsa_next_free_sgpr 41
		.amdhsa_reserve_vcc 1
		.amdhsa_float_round_mode_32 0
		.amdhsa_float_round_mode_16_64 0
		.amdhsa_float_denorm_mode_32 3
		.amdhsa_float_denorm_mode_16_64 3
		.amdhsa_fp16_overflow 0
		.amdhsa_workgroup_processor_mode 1
		.amdhsa_memory_ordered 1
		.amdhsa_forward_progress 1
		.amdhsa_inst_pref_size 12
		.amdhsa_round_robin_scheduling 0
		.amdhsa_exception_fp_ieee_invalid_op 0
		.amdhsa_exception_fp_denorm_src 0
		.amdhsa_exception_fp_ieee_div_zero 0
		.amdhsa_exception_fp_ieee_overflow 0
		.amdhsa_exception_fp_ieee_underflow 0
		.amdhsa_exception_fp_ieee_inexact 0
		.amdhsa_exception_int_div_zero 0
	.end_amdhsa_kernel
	.section	.text._ZL24rocblas_symm_hemm_kernelILb0ELb0ELi32EPKfS1_PfEvbiiT2_T3_lllS4_lllT4_llli,"axG",@progbits,_ZL24rocblas_symm_hemm_kernelILb0ELb0ELi32EPKfS1_PfEvbiiT2_T3_lllS4_lllT4_llli,comdat
.Lfunc_end1:
	.size	_ZL24rocblas_symm_hemm_kernelILb0ELb0ELi32EPKfS1_PfEvbiiT2_T3_lllS4_lllT4_llli, .Lfunc_end1-_ZL24rocblas_symm_hemm_kernelILb0ELb0ELi32EPKfS1_PfEvbiiT2_T3_lllS4_lllT4_llli
                                        ; -- End function
	.set _ZL24rocblas_symm_hemm_kernelILb0ELb0ELi32EPKfS1_PfEvbiiT2_T3_lllS4_lllT4_llli.num_vgpr, 34
	.set _ZL24rocblas_symm_hemm_kernelILb0ELb0ELi32EPKfS1_PfEvbiiT2_T3_lllS4_lllT4_llli.num_agpr, 0
	.set _ZL24rocblas_symm_hemm_kernelILb0ELb0ELi32EPKfS1_PfEvbiiT2_T3_lllS4_lllT4_llli.numbered_sgpr, 41
	.set _ZL24rocblas_symm_hemm_kernelILb0ELb0ELi32EPKfS1_PfEvbiiT2_T3_lllS4_lllT4_llli.num_named_barrier, 0
	.set _ZL24rocblas_symm_hemm_kernelILb0ELb0ELi32EPKfS1_PfEvbiiT2_T3_lllS4_lllT4_llli.private_seg_size, 0
	.set _ZL24rocblas_symm_hemm_kernelILb0ELb0ELi32EPKfS1_PfEvbiiT2_T3_lllS4_lllT4_llli.uses_vcc, 1
	.set _ZL24rocblas_symm_hemm_kernelILb0ELb0ELi32EPKfS1_PfEvbiiT2_T3_lllS4_lllT4_llli.uses_flat_scratch, 0
	.set _ZL24rocblas_symm_hemm_kernelILb0ELb0ELi32EPKfS1_PfEvbiiT2_T3_lllS4_lllT4_llli.has_dyn_sized_stack, 0
	.set _ZL24rocblas_symm_hemm_kernelILb0ELb0ELi32EPKfS1_PfEvbiiT2_T3_lllS4_lllT4_llli.has_recursion, 0
	.set _ZL24rocblas_symm_hemm_kernelILb0ELb0ELi32EPKfS1_PfEvbiiT2_T3_lllS4_lllT4_llli.has_indirect_call, 0
	.section	.AMDGPU.csdata,"",@progbits
; Kernel info:
; codeLenInByte = 1472
; TotalNumSgprs: 43
; NumVgprs: 34
; ScratchSize: 0
; MemoryBound: 0
; FloatMode: 240
; IeeeMode: 1
; LDSByteSize: 8192 bytes/workgroup (compile time only)
; SGPRBlocks: 0
; VGPRBlocks: 4
; NumSGPRsForWavesPerEU: 43
; NumVGPRsForWavesPerEU: 34
; Occupancy: 16
; WaveLimiterHint : 1
; COMPUTE_PGM_RSRC2:SCRATCH_EN: 0
; COMPUTE_PGM_RSRC2:USER_SGPR: 2
; COMPUTE_PGM_RSRC2:TRAP_HANDLER: 0
; COMPUTE_PGM_RSRC2:TGID_X_EN: 1
; COMPUTE_PGM_RSRC2:TGID_Y_EN: 1
; COMPUTE_PGM_RSRC2:TGID_Z_EN: 1
; COMPUTE_PGM_RSRC2:TIDIG_COMP_CNT: 1
	.section	.text._ZL24rocblas_symm_hemm_kernelILb0ELb1ELi32EPKfS1_PfEvbiiT2_T3_lllS4_lllT4_llli,"axG",@progbits,_ZL24rocblas_symm_hemm_kernelILb0ELb1ELi32EPKfS1_PfEvbiiT2_T3_lllS4_lllT4_llli,comdat
	.globl	_ZL24rocblas_symm_hemm_kernelILb0ELb1ELi32EPKfS1_PfEvbiiT2_T3_lllS4_lllT4_llli ; -- Begin function _ZL24rocblas_symm_hemm_kernelILb0ELb1ELi32EPKfS1_PfEvbiiT2_T3_lllS4_lllT4_llli
	.p2align	8
	.type	_ZL24rocblas_symm_hemm_kernelILb0ELb1ELi32EPKfS1_PfEvbiiT2_T3_lllS4_lllT4_llli,@function
_ZL24rocblas_symm_hemm_kernelILb0ELb1ELi32EPKfS1_PfEvbiiT2_T3_lllS4_lllT4_llli: ; @_ZL24rocblas_symm_hemm_kernelILb0ELb1ELi32EPKfS1_PfEvbiiT2_T3_lllS4_lllT4_llli
; %bb.0:
	s_load_b512 s[4:19], s[0:1], 0x10
	s_wait_kmcnt 0x0
	s_load_b32 s31, s[4:5], 0x0
	s_wait_kmcnt 0x0
	s_cmp_eq_f32 s31, 0
	s_cbranch_scc1 .LBB2_16
; %bb.1:
	s_load_b32 s33, s[0:1], 0x78
	s_lshr_b32 s4, ttmp7, 16
	s_wait_kmcnt 0x0
	s_cmp_ge_u32 s4, s33
	s_cbranch_scc1 .LBB2_16
; %bb.2:
	s_clause 0x1
	s_load_b96 s[28:30], s[0:1], 0x0
	s_load_b256 s[20:27], s[0:1], 0x50
	v_and_b32_e32 v4, 0x3ff, v0
	v_bfe_u32 v5, v0, 10, 10
	s_lshl_b64 s[34:35], s[8:9], 2
	s_load_b64 s[8:9], s[0:1], 0x70
	s_add_nc_u64 s[6:7], s[6:7], s[34:35]
	v_lshl_add_u32 v0, ttmp9, 5, v4
	v_lshlrev_b32_e32 v2, 2, v5
	v_lshlrev_b32_e32 v6, 7, v4
	s_delay_alu instid0(VALU_DEP_3) | instskip(NEXT) | instid1(VALU_DEP_3)
	v_ashrrev_i32_e32 v1, 31, v0
	v_or_b32_e32 v7, 0x1000, v2
	s_delay_alu instid0(VALU_DEP_3) | instskip(NEXT) | instid1(VALU_DEP_3)
	v_add_nc_u32_e32 v8, v6, v2
	v_lshlrev_b64_e32 v[1:2], 2, v[0:1]
	s_delay_alu instid0(VALU_DEP_3)
	v_add_nc_u32_e32 v9, v7, v6
	v_add_nc_u32_e32 v14, 0x400, v7
	s_wait_kmcnt 0x0
	s_bitcmp1_b32 s28, 0
	v_cmp_gt_i32_e64 s2, s29, v0
	s_cselect_b32 s3, -1, 0
	s_add_co_i32 s5, s30, -1
	s_lshl_b64 s[16:17], s[16:17], 2
	s_ashr_i32 s36, s5, 31
	s_lshl_b64 s[28:29], s[24:25], 2
	s_lshr_b32 s25, s36, 27
	s_add_nc_u64 s[14:15], s[14:15], s[16:17]
	s_add_co_i32 s5, s5, s25
	s_wait_alu 0xfffe
	s_add_nc_u64 s[16:17], s[22:23], s[28:29]
	v_add_co_u32 v10, vcc_lo, s14, v1
	s_and_b32 s24, ttmp7, 0xffff
	s_ashr_i32 s25, s5, 5
	v_add_co_ci_u32_e64 v11, null, s15, v2, vcc_lo
	v_add_co_u32 v12, vcc_lo, s16, v1
	s_cmp_le_i32 s24, s25
	s_wait_alu 0xfffd
	v_add_co_ci_u32_e64 v13, null, s17, v2, vcc_lo
	v_add_nc_u32_e32 v15, 0x800, v7
	v_add_nc_u32_e32 v16, 0xc00, v7
	s_cselect_b32 s22, -1, 0
	s_cmp_gt_i32 s30, 0
	s_mov_b32 s5, 0
	s_cselect_b32 s23, -1, 0
	s_add_nc_u64 s[14:15], s[0:1], 0x80
	s_branch .LBB2_4
.LBB2_3:                                ;   in Loop: Header=BB2_4 Depth=1
	s_add_co_i32 s4, s4, 0x10000
	s_delay_alu instid0(SALU_CYCLE_1)
	s_cmp_lt_u32 s4, s33
	s_cbranch_scc0 .LBB2_16
.LBB2_4:                                ; =>This Loop Header: Depth=1
                                        ;     Child Loop BB2_7 Depth 2
                                        ;       Child Loop BB2_10 Depth 3
	s_and_not1_b32 vcc_lo, exec_lo, s22
	s_wait_alu 0xfffe
	s_cbranch_vccnz .LBB2_3
; %bb.5:                                ;   in Loop: Header=BB2_4 Depth=1
	s_load_b32 s1, s[14:15], 0x4
	s_mul_u64 s[28:29], s[20:21], s[4:5]
	s_mul_u64 s[34:35], s[8:9], s[4:5]
	s_wait_alu 0xfffe
	s_lshl_b64 s[28:29], s[28:29], 2
	s_mul_u64 s[16:17], s[12:13], s[4:5]
	s_wait_alu 0xfffe
	v_add_co_u32 v17, vcc_lo, v10, s28
	s_wait_alu 0xfffd
	v_add_co_ci_u32_e64 v18, null, s29, v11, vcc_lo
	s_lshl_b64 s[28:29], s[34:35], 2
	s_lshl_b64 s[16:17], s[16:17], 2
	s_wait_alu 0xfffe
	v_add_co_u32 v19, vcc_lo, v12, s28
	s_wait_alu 0xfffd
	v_add_co_ci_u32_e64 v20, null, s29, v13, vcc_lo
	s_add_nc_u64 s[16:17], s[6:7], s[16:17]
	s_mov_b32 s28, s24
	s_branch .LBB2_7
.LBB2_6:                                ;   in Loop: Header=BB2_7 Depth=2
	s_wait_kmcnt 0x0
	s_add_co_i32 s28, s28, s1
	s_wait_alu 0xfffe
	s_cmp_gt_i32 s28, s25
	s_cbranch_scc1 .LBB2_3
.LBB2_7:                                ;   Parent Loop BB2_4 Depth=1
                                        ; =>  This Loop Header: Depth=2
                                        ;       Child Loop BB2_10 Depth 3
	s_and_not1_b32 vcc_lo, exec_lo, s23
	s_wait_alu 0xfffe
	s_cbranch_vccnz .LBB2_6
; %bb.8:                                ;   in Loop: Header=BB2_7 Depth=2
	v_lshl_add_u32 v21, s28, 5, v5
	s_mov_b32 s29, 0
	s_delay_alu instid0(VALU_DEP_1) | instskip(SKIP_3) | instid1(VALU_DEP_4)
	v_ashrrev_i32_e32 v2, 31, v21
	v_mul_lo_u32 v3, s27, v21
	v_mad_co_u64_u32 v[0:1], null, s26, v21, 0
	v_cmp_gt_i32_e32 vcc_lo, s30, v21
	v_mul_lo_u32 v2, s26, v2
	s_delay_alu instid0(VALU_DEP_1) | instskip(NEXT) | instid1(VALU_DEP_1)
	v_add3_u32 v1, v1, v2, v3
	v_lshlrev_b64_e32 v[0:1], 2, v[0:1]
	s_delay_alu instid0(VALU_DEP_1) | instskip(SKIP_1) | instid1(VALU_DEP_2)
	v_add_co_u32 v0, s0, v19, v0
	s_wait_alu 0xf1ff
	v_add_co_ci_u32_e64 v1, null, v20, v1, s0
	s_and_b32 s0, s2, vcc_lo
	s_branch .LBB2_10
.LBB2_9:                                ;   in Loop: Header=BB2_10 Depth=3
	s_or_b32 exec_lo, exec_lo, s34
	s_add_co_i32 s29, s29, 32
	s_wait_loadcnt 0x0
	s_wait_storecnt 0x0
	s_wait_alu 0xfffe
	s_cmp_ge_i32 s29, s30
	s_barrier_signal -1
	s_barrier_wait -1
	global_inv scope:SCOPE_SE
	s_cbranch_scc1 .LBB2_6
.LBB2_10:                               ;   Parent Loop BB2_4 Depth=1
                                        ;     Parent Loop BB2_7 Depth=2
                                        ; =>    This Inner Loop Header: Depth=3
	s_wait_alu 0xfffe
	v_dual_mov_b32 v3, 0 :: v_dual_add_nc_u32 v2, s29, v5
	v_mov_b32_e32 v22, 0
	s_delay_alu instid0(VALU_DEP_2) | instskip(SKIP_1) | instid1(SALU_CYCLE_1)
	v_cmp_gt_i32_e32 vcc_lo, s30, v2
	s_and_b32 s35, s2, vcc_lo
	s_and_saveexec_b32 s34, s35
	s_cbranch_execz .LBB2_12
; %bb.11:                               ;   in Loop: Header=BB2_10 Depth=3
	v_ashrrev_i32_e32 v24, 31, v2
	v_mul_lo_u32 v25, s19, v2
	v_mad_co_u64_u32 v[22:23], null, s18, v2, 0
	s_delay_alu instid0(VALU_DEP_3) | instskip(NEXT) | instid1(VALU_DEP_1)
	v_mul_lo_u32 v2, s18, v24
	v_add3_u32 v23, v23, v2, v25
	s_delay_alu instid0(VALU_DEP_1) | instskip(NEXT) | instid1(VALU_DEP_1)
	v_lshlrev_b64_e32 v[22:23], 2, v[22:23]
	v_add_co_u32 v22, vcc_lo, v17, v22
	s_wait_alu 0xfffd
	s_delay_alu instid0(VALU_DEP_2)
	v_add_co_ci_u32_e64 v23, null, v18, v23, vcc_lo
	global_load_b32 v22, v[22:23], off
.LBB2_12:                               ;   in Loop: Header=BB2_10 Depth=3
	s_or_b32 exec_lo, exec_lo, s34
	v_add_nc_u32_e32 v23, s29, v4
	s_mov_b32 s34, exec_lo
	s_wait_loadcnt 0x0
	ds_store_b32 v8, v22
	v_cndmask_b32_e64 v2, v21, v23, s3
	v_cndmask_b32_e64 v24, v23, v21, s3
	s_delay_alu instid0(VALU_DEP_1) | instskip(SKIP_2) | instid1(VALU_DEP_1)
	v_cmp_gt_i32_e32 vcc_lo, v2, v24
	s_wait_alu 0xfffd
	v_dual_cndmask_b32 v2, v23, v21 :: v_dual_cndmask_b32 v23, v21, v23
	v_max_i32_e32 v24, v2, v23
	s_delay_alu instid0(VALU_DEP_1)
	v_cmpx_gt_i32_e64 s30, v24
	s_cbranch_execz .LBB2_14
; %bb.13:                               ;   in Loop: Header=BB2_10 Depth=3
	v_ashrrev_i32_e32 v3, 31, v23
	v_mul_lo_u32 v24, s11, v23
	v_mad_co_u64_u32 v[22:23], null, s10, v23, 0
	s_delay_alu instid0(VALU_DEP_3) | instskip(NEXT) | instid1(VALU_DEP_1)
	v_mul_lo_u32 v3, s10, v3
	v_add3_u32 v23, v23, v3, v24
	v_ashrrev_i32_e32 v3, 31, v2
	s_delay_alu instid0(VALU_DEP_2) | instskip(NEXT) | instid1(VALU_DEP_2)
	v_lshlrev_b64_e32 v[22:23], 2, v[22:23]
	v_lshlrev_b64_e32 v[2:3], 2, v[2:3]
	s_delay_alu instid0(VALU_DEP_2) | instskip(SKIP_1) | instid1(VALU_DEP_3)
	v_add_co_u32 v22, vcc_lo, s16, v22
	s_wait_alu 0xfffd
	v_add_co_ci_u32_e64 v23, null, s17, v23, vcc_lo
	s_delay_alu instid0(VALU_DEP_2) | instskip(SKIP_1) | instid1(VALU_DEP_2)
	v_add_co_u32 v2, vcc_lo, v22, v2
	s_wait_alu 0xfffd
	v_add_co_ci_u32_e64 v3, null, v23, v3, vcc_lo
	global_load_b32 v3, v[2:3], off
.LBB2_14:                               ;   in Loop: Header=BB2_10 Depth=3
	s_or_b32 exec_lo, exec_lo, s34
	s_wait_loadcnt 0x0
	ds_store_b32 v9, v3
	s_wait_dscnt 0x0
	s_barrier_signal -1
	s_barrier_wait -1
	global_inv scope:SCOPE_SE
	s_and_saveexec_b32 s34, s0
	s_cbranch_execz .LBB2_9
; %bb.15:                               ;   in Loop: Header=BB2_10 Depth=3
	global_load_b32 v34, v[0:1], off
	ds_load_b128 v[22:25], v6
	ds_load_2addr_b32 v[2:3], v7 offset1:32
	ds_load_2addr_b32 v[30:31], v7 offset0:64 offset1:96
	ds_load_b128 v[26:29], v6 offset:16
	ds_load_2addr_b32 v[32:33], v7 offset0:128 offset1:160
	s_wait_dscnt 0x3
	v_fma_f32 v35, v22, v2, 0
	s_delay_alu instid0(VALU_DEP_1) | instskip(SKIP_3) | instid1(VALU_DEP_1)
	v_fmac_f32_e32 v35, v23, v3
	ds_load_2addr_b32 v[2:3], v7 offset0:192 offset1:224
	s_wait_dscnt 0x3
	v_fmac_f32_e32 v35, v24, v30
	v_fmac_f32_e32 v35, v25, v31
	ds_load_b128 v[22:25], v6 offset:32
	ds_load_2addr_b32 v[30:31], v14 offset1:32
	s_wait_dscnt 0x3
	v_fmac_f32_e32 v35, v26, v32
	s_delay_alu instid0(VALU_DEP_1) | instskip(SKIP_3) | instid1(VALU_DEP_1)
	v_fmac_f32_e32 v35, v27, v33
	ds_load_2addr_b32 v[32:33], v14 offset0:64 offset1:96
	s_wait_dscnt 0x3
	v_fmac_f32_e32 v35, v28, v2
	v_fmac_f32_e32 v35, v29, v3
	ds_load_b128 v[26:29], v6 offset:48
	ds_load_2addr_b32 v[2:3], v14 offset0:128 offset1:160
	s_wait_dscnt 0x3
	v_fmac_f32_e32 v35, v22, v30
	s_delay_alu instid0(VALU_DEP_1) | instskip(SKIP_3) | instid1(VALU_DEP_1)
	v_fmac_f32_e32 v35, v23, v31
	ds_load_2addr_b32 v[30:31], v14 offset0:192 offset1:224
	s_wait_dscnt 0x3
	v_fmac_f32_e32 v35, v24, v32
	v_fmac_f32_e32 v35, v25, v33
	ds_load_b128 v[22:25], v6 offset:64
	ds_load_2addr_b32 v[32:33], v15 offset1:32
	s_wait_dscnt 0x3
	v_fmac_f32_e32 v35, v26, v2
	s_delay_alu instid0(VALU_DEP_1) | instskip(SKIP_3) | instid1(VALU_DEP_1)
	v_fmac_f32_e32 v35, v27, v3
	ds_load_2addr_b32 v[2:3], v15 offset0:64 offset1:96
	s_wait_dscnt 0x3
	v_fmac_f32_e32 v35, v28, v30
	v_fmac_f32_e32 v35, v29, v31
	ds_load_b128 v[26:29], v6 offset:80
	ds_load_2addr_b32 v[30:31], v15 offset0:128 offset1:160
	s_wait_dscnt 0x3
	v_fmac_f32_e32 v35, v22, v32
	;; [unrolled: 20-line block ×3, first 2 shown]
	s_delay_alu instid0(VALU_DEP_1) | instskip(SKIP_3) | instid1(VALU_DEP_1)
	v_fmac_f32_e32 v35, v23, v3
	ds_load_2addr_b32 v[2:3], v16 offset0:192 offset1:224
	s_wait_dscnt 0x3
	v_fmac_f32_e32 v35, v24, v30
	v_fmac_f32_e32 v35, v25, v31
	s_wait_dscnt 0x1
	s_delay_alu instid0(VALU_DEP_1) | instskip(NEXT) | instid1(VALU_DEP_1)
	v_fmac_f32_e32 v35, v26, v32
	v_fmac_f32_e32 v35, v27, v33
	s_wait_dscnt 0x0
	s_delay_alu instid0(VALU_DEP_1) | instskip(NEXT) | instid1(VALU_DEP_1)
	v_fmac_f32_e32 v35, v28, v2
	v_fmac_f32_e32 v35, v29, v3
	s_wait_loadcnt 0x0
	s_delay_alu instid0(VALU_DEP_1)
	v_fmac_f32_e32 v34, s31, v35
	global_store_b32 v[0:1], v34, off
	s_branch .LBB2_9
.LBB2_16:
	s_endpgm
	.section	.rodata,"a",@progbits
	.p2align	6, 0x0
	.amdhsa_kernel _ZL24rocblas_symm_hemm_kernelILb0ELb1ELi32EPKfS1_PfEvbiiT2_T3_lllS4_lllT4_llli
		.amdhsa_group_segment_fixed_size 8192
		.amdhsa_private_segment_fixed_size 0
		.amdhsa_kernarg_size 384
		.amdhsa_user_sgpr_count 2
		.amdhsa_user_sgpr_dispatch_ptr 0
		.amdhsa_user_sgpr_queue_ptr 0
		.amdhsa_user_sgpr_kernarg_segment_ptr 1
		.amdhsa_user_sgpr_dispatch_id 0
		.amdhsa_user_sgpr_private_segment_size 0
		.amdhsa_wavefront_size32 1
		.amdhsa_uses_dynamic_stack 0
		.amdhsa_enable_private_segment 0
		.amdhsa_system_sgpr_workgroup_id_x 1
		.amdhsa_system_sgpr_workgroup_id_y 1
		.amdhsa_system_sgpr_workgroup_id_z 1
		.amdhsa_system_sgpr_workgroup_info 0
		.amdhsa_system_vgpr_workitem_id 1
		.amdhsa_next_free_vgpr 36
		.amdhsa_next_free_sgpr 37
		.amdhsa_reserve_vcc 1
		.amdhsa_float_round_mode_32 0
		.amdhsa_float_round_mode_16_64 0
		.amdhsa_float_denorm_mode_32 3
		.amdhsa_float_denorm_mode_16_64 3
		.amdhsa_fp16_overflow 0
		.amdhsa_workgroup_processor_mode 1
		.amdhsa_memory_ordered 1
		.amdhsa_forward_progress 1
		.amdhsa_inst_pref_size 12
		.amdhsa_round_robin_scheduling 0
		.amdhsa_exception_fp_ieee_invalid_op 0
		.amdhsa_exception_fp_denorm_src 0
		.amdhsa_exception_fp_ieee_div_zero 0
		.amdhsa_exception_fp_ieee_overflow 0
		.amdhsa_exception_fp_ieee_underflow 0
		.amdhsa_exception_fp_ieee_inexact 0
		.amdhsa_exception_int_div_zero 0
	.end_amdhsa_kernel
	.section	.text._ZL24rocblas_symm_hemm_kernelILb0ELb1ELi32EPKfS1_PfEvbiiT2_T3_lllS4_lllT4_llli,"axG",@progbits,_ZL24rocblas_symm_hemm_kernelILb0ELb1ELi32EPKfS1_PfEvbiiT2_T3_lllS4_lllT4_llli,comdat
.Lfunc_end2:
	.size	_ZL24rocblas_symm_hemm_kernelILb0ELb1ELi32EPKfS1_PfEvbiiT2_T3_lllS4_lllT4_llli, .Lfunc_end2-_ZL24rocblas_symm_hemm_kernelILb0ELb1ELi32EPKfS1_PfEvbiiT2_T3_lllS4_lllT4_llli
                                        ; -- End function
	.set _ZL24rocblas_symm_hemm_kernelILb0ELb1ELi32EPKfS1_PfEvbiiT2_T3_lllS4_lllT4_llli.num_vgpr, 36
	.set _ZL24rocblas_symm_hemm_kernelILb0ELb1ELi32EPKfS1_PfEvbiiT2_T3_lllS4_lllT4_llli.num_agpr, 0
	.set _ZL24rocblas_symm_hemm_kernelILb0ELb1ELi32EPKfS1_PfEvbiiT2_T3_lllS4_lllT4_llli.numbered_sgpr, 37
	.set _ZL24rocblas_symm_hemm_kernelILb0ELb1ELi32EPKfS1_PfEvbiiT2_T3_lllS4_lllT4_llli.num_named_barrier, 0
	.set _ZL24rocblas_symm_hemm_kernelILb0ELb1ELi32EPKfS1_PfEvbiiT2_T3_lllS4_lllT4_llli.private_seg_size, 0
	.set _ZL24rocblas_symm_hemm_kernelILb0ELb1ELi32EPKfS1_PfEvbiiT2_T3_lllS4_lllT4_llli.uses_vcc, 1
	.set _ZL24rocblas_symm_hemm_kernelILb0ELb1ELi32EPKfS1_PfEvbiiT2_T3_lllS4_lllT4_llli.uses_flat_scratch, 0
	.set _ZL24rocblas_symm_hemm_kernelILb0ELb1ELi32EPKfS1_PfEvbiiT2_T3_lllS4_lllT4_llli.has_dyn_sized_stack, 0
	.set _ZL24rocblas_symm_hemm_kernelILb0ELb1ELi32EPKfS1_PfEvbiiT2_T3_lllS4_lllT4_llli.has_recursion, 0
	.set _ZL24rocblas_symm_hemm_kernelILb0ELb1ELi32EPKfS1_PfEvbiiT2_T3_lllS4_lllT4_llli.has_indirect_call, 0
	.section	.AMDGPU.csdata,"",@progbits
; Kernel info:
; codeLenInByte = 1456
; TotalNumSgprs: 39
; NumVgprs: 36
; ScratchSize: 0
; MemoryBound: 0
; FloatMode: 240
; IeeeMode: 1
; LDSByteSize: 8192 bytes/workgroup (compile time only)
; SGPRBlocks: 0
; VGPRBlocks: 4
; NumSGPRsForWavesPerEU: 39
; NumVGPRsForWavesPerEU: 36
; Occupancy: 16
; WaveLimiterHint : 1
; COMPUTE_PGM_RSRC2:SCRATCH_EN: 0
; COMPUTE_PGM_RSRC2:USER_SGPR: 2
; COMPUTE_PGM_RSRC2:TRAP_HANDLER: 0
; COMPUTE_PGM_RSRC2:TGID_X_EN: 1
; COMPUTE_PGM_RSRC2:TGID_Y_EN: 1
; COMPUTE_PGM_RSRC2:TGID_Z_EN: 1
; COMPUTE_PGM_RSRC2:TIDIG_COMP_CNT: 1
	.section	.text._ZL25rocblas_symm_scale_kernelILi128ELi8EfPfEviiT1_T2_llli,"axG",@progbits,_ZL25rocblas_symm_scale_kernelILi128ELi8EfPfEviiT1_T2_llli,comdat
	.globl	_ZL25rocblas_symm_scale_kernelILi128ELi8EfPfEviiT1_T2_llli ; -- Begin function _ZL25rocblas_symm_scale_kernelILi128ELi8EfPfEviiT1_T2_llli
	.p2align	8
	.type	_ZL25rocblas_symm_scale_kernelILi128ELi8EfPfEviiT1_T2_llli,@function
_ZL25rocblas_symm_scale_kernelILi128ELi8EfPfEviiT1_T2_llli: ; @_ZL25rocblas_symm_scale_kernelILi128ELi8EfPfEviiT1_T2_llli
; %bb.0:
	s_load_b96 s[12:14], s[0:1], 0x0
	s_wait_kmcnt 0x0
	s_cmp_eq_f32 s14, 1.0
	s_cbranch_scc1 .LBB3_10
; %bb.1:
	s_load_b32 s15, s[0:1], 0x30
	s_lshr_b32 s18, ttmp7, 16
	s_wait_kmcnt 0x0
	s_cmp_ge_u32 s18, s15
	s_cbranch_scc1 .LBB3_10
; %bb.2:
	s_load_b256 s[4:11], s[0:1], 0x10
	v_bfe_u32 v1, v0, 10, 10
	s_and_b32 s2, ttmp7, 0xffff
	v_and_b32_e32 v0, 0x3ff, v0
	v_mov_b32_e32 v2, 0
	s_ashr_i32 s17, s13, 31
	v_lshl_add_u32 v1, s2, 3, v1
	s_mov_b32 s16, s13
	s_delay_alu instid0(VALU_DEP_2) | instskip(NEXT) | instid1(VALU_DEP_2)
	v_mov_b32_e32 v6, v2
	v_cmp_gt_i64_e32 vcc_lo, s[16:17], v[1:2]
	s_wait_kmcnt 0x0
	v_mad_co_u64_u32 v[3:4], null, s8, v1, 0
	s_delay_alu instid0(VALU_DEP_1) | instskip(SKIP_1) | instid1(VALU_DEP_1)
	v_mad_co_u64_u32 v[4:5], null, s9, v1, v[4:5]
	v_lshl_add_u32 v5, ttmp9, 7, v0
	v_cmp_gt_u32_e64 s2, s12, v5
	s_delay_alu instid0(VALU_DEP_3)
	v_lshlrev_b64_e32 v[3:4], 2, v[3:4]
	v_lshlrev_b64_e32 v[5:6], 2, v[5:6]
	s_and_b32 s12, s2, vcc_lo
	s_cmp_neq_f32 s14, 0
	s_cselect_b32 s13, -1, 0
	s_lshl_b64 s[2:3], s[6:7], 2
	s_lshl_b64 s[6:7], s[10:11], 2
	s_wait_alu 0xfffe
	v_add_co_u32 v0, vcc_lo, v3, s2
	s_delay_alu instid0(VALU_DEP_1)
	v_add_co_ci_u32_e64 v3, null, s3, v4, vcc_lo
	s_mov_b32 s3, 0
	v_add_co_u32 v0, vcc_lo, v0, v5
	s_wait_alu 0xfffd
	v_add_co_ci_u32_e64 v4, null, v3, v6, vcc_lo
	s_lshl_b64 s[8:9], s[8:9], 2
	v_add_co_u32 v3, vcc_lo, s4, v0
	s_wait_alu 0xfffd
	v_add_co_ci_u32_e64 v4, null, s5, v4, vcc_lo
	s_add_nc_u64 s[4:5], s[0:1], 56
	s_branch .LBB3_4
.LBB3_3:                                ;   in Loop: Header=BB3_4 Depth=1
	s_wait_alu 0xfffe
	s_or_b32 exec_lo, exec_lo, s1
	s_add_co_i32 s18, s18, 0x10000
	s_wait_alu 0xfffe
	s_cmp_lt_u32 s18, s15
	s_cbranch_scc0 .LBB3_10
.LBB3_4:                                ; =>This Loop Header: Depth=1
                                        ;     Child Loop BB3_8 Depth 2
	s_and_saveexec_b32 s1, s12
	s_cbranch_execz .LBB3_3
; %bb.5:                                ;   in Loop: Header=BB3_4 Depth=1
	s_load_b32 s0, s[4:5], 0x4
	v_mad_co_u64_u32 v[5:6], null, s6, s18, v[3:4]
	s_mov_b32 s19, 0
	v_mov_b32_e32 v0, v6
	s_delay_alu instid0(VALU_DEP_1)
	v_mad_co_u64_u32 v[6:7], null, s7, s18, v[0:1]
	v_dual_mov_b32 v8, v2 :: v_dual_mov_b32 v7, v1
	s_wait_kmcnt 0x0
	s_lshl_b32 s2, s0, 3
	s_wait_alu 0xfffe
	s_mul_u64 s[10:11], s[8:9], s[2:3]
	s_branch .LBB3_8
.LBB3_6:                                ;   in Loop: Header=BB3_8 Depth=2
	global_load_b32 v0, v[5:6], off
	s_wait_loadcnt 0x0
	v_mul_f32_e32 v0, s14, v0
.LBB3_7:                                ;   in Loop: Header=BB3_8 Depth=2
	v_add_co_u32 v7, vcc_lo, v7, s2
	s_wait_alu 0xfffd
	v_add_co_ci_u32_e64 v8, null, 0, v8, vcc_lo
	global_store_b32 v[5:6], v0, off
	v_add_co_u32 v5, s0, v5, s10
	v_cmp_le_i64_e32 vcc_lo, s[16:17], v[7:8]
	s_wait_alu 0xf1ff
	v_add_co_ci_u32_e64 v6, null, s11, v6, s0
	s_or_b32 s19, vcc_lo, s19
	s_wait_alu 0xfffe
	s_and_not1_b32 exec_lo, exec_lo, s19
	s_cbranch_execz .LBB3_3
.LBB3_8:                                ;   Parent Loop BB3_4 Depth=1
                                        ; =>  This Inner Loop Header: Depth=2
	s_and_not1_b32 vcc_lo, exec_lo, s13
	s_wait_alu 0xfffe
	s_cbranch_vccz .LBB3_6
; %bb.9:                                ;   in Loop: Header=BB3_8 Depth=2
	v_mov_b32_e32 v0, 0
	s_branch .LBB3_7
.LBB3_10:
	s_endpgm
	.section	.rodata,"a",@progbits
	.p2align	6, 0x0
	.amdhsa_kernel _ZL25rocblas_symm_scale_kernelILi128ELi8EfPfEviiT1_T2_llli
		.amdhsa_group_segment_fixed_size 0
		.amdhsa_private_segment_fixed_size 0
		.amdhsa_kernarg_size 312
		.amdhsa_user_sgpr_count 2
		.amdhsa_user_sgpr_dispatch_ptr 0
		.amdhsa_user_sgpr_queue_ptr 0
		.amdhsa_user_sgpr_kernarg_segment_ptr 1
		.amdhsa_user_sgpr_dispatch_id 0
		.amdhsa_user_sgpr_private_segment_size 0
		.amdhsa_wavefront_size32 1
		.amdhsa_uses_dynamic_stack 0
		.amdhsa_enable_private_segment 0
		.amdhsa_system_sgpr_workgroup_id_x 1
		.amdhsa_system_sgpr_workgroup_id_y 1
		.amdhsa_system_sgpr_workgroup_id_z 1
		.amdhsa_system_sgpr_workgroup_info 0
		.amdhsa_system_vgpr_workitem_id 1
		.amdhsa_next_free_vgpr 9
		.amdhsa_next_free_sgpr 20
		.amdhsa_reserve_vcc 1
		.amdhsa_float_round_mode_32 0
		.amdhsa_float_round_mode_16_64 0
		.amdhsa_float_denorm_mode_32 3
		.amdhsa_float_denorm_mode_16_64 3
		.amdhsa_fp16_overflow 0
		.amdhsa_workgroup_processor_mode 1
		.amdhsa_memory_ordered 1
		.amdhsa_forward_progress 1
		.amdhsa_inst_pref_size 4
		.amdhsa_round_robin_scheduling 0
		.amdhsa_exception_fp_ieee_invalid_op 0
		.amdhsa_exception_fp_denorm_src 0
		.amdhsa_exception_fp_ieee_div_zero 0
		.amdhsa_exception_fp_ieee_overflow 0
		.amdhsa_exception_fp_ieee_underflow 0
		.amdhsa_exception_fp_ieee_inexact 0
		.amdhsa_exception_int_div_zero 0
	.end_amdhsa_kernel
	.section	.text._ZL25rocblas_symm_scale_kernelILi128ELi8EfPfEviiT1_T2_llli,"axG",@progbits,_ZL25rocblas_symm_scale_kernelILi128ELi8EfPfEviiT1_T2_llli,comdat
.Lfunc_end3:
	.size	_ZL25rocblas_symm_scale_kernelILi128ELi8EfPfEviiT1_T2_llli, .Lfunc_end3-_ZL25rocblas_symm_scale_kernelILi128ELi8EfPfEviiT1_T2_llli
                                        ; -- End function
	.set _ZL25rocblas_symm_scale_kernelILi128ELi8EfPfEviiT1_T2_llli.num_vgpr, 9
	.set _ZL25rocblas_symm_scale_kernelILi128ELi8EfPfEviiT1_T2_llli.num_agpr, 0
	.set _ZL25rocblas_symm_scale_kernelILi128ELi8EfPfEviiT1_T2_llli.numbered_sgpr, 20
	.set _ZL25rocblas_symm_scale_kernelILi128ELi8EfPfEviiT1_T2_llli.num_named_barrier, 0
	.set _ZL25rocblas_symm_scale_kernelILi128ELi8EfPfEviiT1_T2_llli.private_seg_size, 0
	.set _ZL25rocblas_symm_scale_kernelILi128ELi8EfPfEviiT1_T2_llli.uses_vcc, 1
	.set _ZL25rocblas_symm_scale_kernelILi128ELi8EfPfEviiT1_T2_llli.uses_flat_scratch, 0
	.set _ZL25rocblas_symm_scale_kernelILi128ELi8EfPfEviiT1_T2_llli.has_dyn_sized_stack, 0
	.set _ZL25rocblas_symm_scale_kernelILi128ELi8EfPfEviiT1_T2_llli.has_recursion, 0
	.set _ZL25rocblas_symm_scale_kernelILi128ELi8EfPfEviiT1_T2_llli.has_indirect_call, 0
	.section	.AMDGPU.csdata,"",@progbits
; Kernel info:
; codeLenInByte = 476
; TotalNumSgprs: 22
; NumVgprs: 9
; ScratchSize: 0
; MemoryBound: 0
; FloatMode: 240
; IeeeMode: 1
; LDSByteSize: 0 bytes/workgroup (compile time only)
; SGPRBlocks: 0
; VGPRBlocks: 1
; NumSGPRsForWavesPerEU: 22
; NumVGPRsForWavesPerEU: 9
; Occupancy: 16
; WaveLimiterHint : 0
; COMPUTE_PGM_RSRC2:SCRATCH_EN: 0
; COMPUTE_PGM_RSRC2:USER_SGPR: 2
; COMPUTE_PGM_RSRC2:TRAP_HANDLER: 0
; COMPUTE_PGM_RSRC2:TGID_X_EN: 1
; COMPUTE_PGM_RSRC2:TGID_Y_EN: 1
; COMPUTE_PGM_RSRC2:TGID_Z_EN: 1
; COMPUTE_PGM_RSRC2:TIDIG_COMP_CNT: 1
	.section	.text._ZL24rocblas_symm_hemm_kernelILb0ELb0ELi32EfPKfPfEvbiiT2_T3_lllS4_lllT4_llli,"axG",@progbits,_ZL24rocblas_symm_hemm_kernelILb0ELb0ELi32EfPKfPfEvbiiT2_T3_lllS4_lllT4_llli,comdat
	.globl	_ZL24rocblas_symm_hemm_kernelILb0ELb0ELi32EfPKfPfEvbiiT2_T3_lllS4_lllT4_llli ; -- Begin function _ZL24rocblas_symm_hemm_kernelILb0ELb0ELi32EfPKfPfEvbiiT2_T3_lllS4_lllT4_llli
	.p2align	8
	.type	_ZL24rocblas_symm_hemm_kernelILb0ELb0ELi32EfPKfPfEvbiiT2_T3_lllS4_lllT4_llli,@function
_ZL24rocblas_symm_hemm_kernelILb0ELb0ELi32EfPKfPfEvbiiT2_T3_lllS4_lllT4_llli: ; @_ZL24rocblas_symm_hemm_kernelILb0ELb0ELi32EfPKfPfEvbiiT2_T3_lllS4_lllT4_llli
; %bb.0:
	s_load_b128 s[28:31], s[0:1], 0x0
	s_wait_kmcnt 0x0
	s_cmp_eq_f32 s31, 0
	s_cbranch_scc1 .LBB4_16
; %bb.1:
	s_load_b32 s33, s[0:1], 0x70
	s_lshr_b32 s34, ttmp7, 16
	s_wait_kmcnt 0x0
	s_cmp_ge_u32 s34, s33
	s_cbranch_scc1 .LBB4_16
; %bb.2:
	s_clause 0x1
	s_load_b512 s[4:19], s[0:1], 0x10
	s_load_b256 s[20:27], s[0:1], 0x50
	v_and_b32_e32 v6, 0x3ff, v0
	v_bfe_u32 v5, v0, 10, 10
	s_delay_alu instid0(VALU_DEP_2) | instskip(NEXT) | instid1(VALU_DEP_2)
	v_lshl_add_u32 v0, ttmp9, 5, v6
	v_lshlrev_b32_e32 v2, 2, v5
	v_lshlrev_b32_e32 v7, 7, v6
	s_delay_alu instid0(VALU_DEP_3) | instskip(NEXT) | instid1(VALU_DEP_3)
	v_ashrrev_i32_e32 v1, 31, v0
	v_or_b32_e32 v8, 0x1000, v2
	s_delay_alu instid0(VALU_DEP_3) | instskip(SKIP_1) | instid1(VALU_DEP_4)
	v_add_nc_u32_e32 v9, v7, v2
	v_cmp_gt_i32_e64 s2, s29, v0
	v_lshlrev_b64_e32 v[1:2], 2, v[0:1]
	s_delay_alu instid0(VALU_DEP_4)
	v_add_nc_u32_e32 v10, v8, v7
	v_add_nc_u32_e32 v11, 0x400, v8
	s_wait_kmcnt 0x0
	s_lshl_b64 s[6:7], s[6:7], 2
	s_lshl_b64 s[14:15], s[14:15], 2
	s_bitcmp1_b32 s28, 0
	s_add_nc_u64 s[4:5], s[4:5], s[6:7]
	s_cselect_b32 s3, -1, 0
	s_add_co_i32 s28, s30, -1
	s_lshl_b64 s[6:7], s[22:23], 2
	s_wait_alu 0xfffe
	s_ashr_i32 s35, s28, 31
	s_add_nc_u64 s[6:7], s[20:21], s[6:7]
	s_lshr_b32 s35, s35, 27
	s_and_b32 s22, ttmp7, 0xffff
	s_add_co_i32 s28, s28, s35
	v_add_co_u32 v13, vcc_lo, s6, v1
	s_wait_alu 0xfffe
	s_ashr_i32 s23, s28, 5
	v_add_nc_u32_e32 v12, 0x800, v8
	s_cmp_le_i32 s22, s23
	v_add_co_ci_u32_e64 v14, null, s7, v2, vcc_lo
	v_add_nc_u32_e32 v15, 0xc00, v8
	s_cselect_b32 s28, -1, 0
	s_cmp_gt_i32 s29, 0
	s_add_nc_u64 s[6:7], s[12:13], s[14:15]
	s_cselect_b32 s36, -1, 0
	s_mov_b32 s35, 0
	s_add_nc_u64 s[12:13], s[0:1], 0x78
	s_branch .LBB4_4
.LBB4_3:                                ;   in Loop: Header=BB4_4 Depth=1
	s_add_co_i32 s34, s34, 0x10000
	s_delay_alu instid0(SALU_CYCLE_1)
	s_cmp_lt_u32 s34, s33
	s_cbranch_scc0 .LBB4_16
.LBB4_4:                                ; =>This Loop Header: Depth=1
                                        ;     Child Loop BB4_7 Depth 2
                                        ;       Child Loop BB4_10 Depth 3
	s_wait_alu 0xfffe
	s_and_not1_b32 vcc_lo, exec_lo, s28
	s_wait_alu 0xfffe
	s_cbranch_vccnz .LBB4_3
; %bb.5:                                ;   in Loop: Header=BB4_4 Depth=1
	s_load_b32 s1, s[12:13], 0x4
	s_mul_u64 s[38:39], s[26:27], s[34:35]
	s_mul_u64 s[14:15], s[10:11], s[34:35]
	s_wait_alu 0xfffe
	s_lshl_b64 s[38:39], s[38:39], 2
	s_mul_u64 s[20:21], s[18:19], s[34:35]
	s_wait_alu 0xfffe
	v_add_co_u32 v16, vcc_lo, v13, s38
	s_wait_alu 0xfffd
	v_add_co_ci_u32_e64 v17, null, s39, v14, vcc_lo
	s_lshl_b64 s[14:15], s[14:15], 2
	s_lshl_b64 s[20:21], s[20:21], 2
	s_wait_alu 0xfffe
	s_add_nc_u64 s[14:15], s[4:5], s[14:15]
	s_add_nc_u64 s[20:21], s[6:7], s[20:21]
	s_mov_b32 s37, s22
	s_branch .LBB4_7
.LBB4_6:                                ;   in Loop: Header=BB4_7 Depth=2
	s_wait_kmcnt 0x0
	s_add_co_i32 s37, s37, s1
	s_wait_alu 0xfffe
	s_cmp_gt_i32 s37, s23
	s_cbranch_scc1 .LBB4_3
.LBB4_7:                                ;   Parent Loop BB4_4 Depth=1
                                        ; =>  This Loop Header: Depth=2
                                        ;       Child Loop BB4_10 Depth 3
	s_and_not1_b32 vcc_lo, exec_lo, s36
	s_wait_alu 0xfffe
	s_cbranch_vccnz .LBB4_6
; %bb.8:                                ;   in Loop: Header=BB4_7 Depth=2
	v_lshl_add_u32 v18, s37, 5, v5
	s_mov_b32 s39, 0
	s_delay_alu instid0(VALU_DEP_1) | instskip(SKIP_3) | instid1(VALU_DEP_4)
	v_ashrrev_i32_e32 v19, 31, v18
	v_mul_lo_u32 v20, s17, v18
	v_mad_co_u64_u32 v[1:2], null, s16, v18, 0
	v_mul_lo_u32 v22, s25, v18
	v_mul_lo_u32 v21, s16, v19
	v_mad_co_u64_u32 v[3:4], null, s24, v18, 0
	v_mul_lo_u32 v19, s24, v19
	v_cmp_gt_i32_e32 vcc_lo, s30, v18
	s_delay_alu instid0(VALU_DEP_4) | instskip(SKIP_1) | instid1(VALU_DEP_3)
	v_add3_u32 v2, v2, v21, v20
	s_and_b32 s38, s2, vcc_lo
	v_add3_u32 v4, v4, v19, v22
	s_delay_alu instid0(VALU_DEP_2) | instskip(NEXT) | instid1(VALU_DEP_2)
	v_lshlrev_b64_e32 v[1:2], 2, v[1:2]
	v_lshlrev_b64_e32 v[3:4], 2, v[3:4]
	s_delay_alu instid0(VALU_DEP_2) | instskip(SKIP_1) | instid1(VALU_DEP_3)
	v_add_co_u32 v18, s0, s20, v1
	s_wait_alu 0xf1ff
	v_add_co_ci_u32_e64 v19, null, s21, v2, s0
	s_delay_alu instid0(VALU_DEP_3)
	v_add_co_u32 v1, s0, v16, v3
	s_wait_alu 0xf1ff
	v_add_co_ci_u32_e64 v2, null, v17, v4, s0
	s_branch .LBB4_10
.LBB4_9:                                ;   in Loop: Header=BB4_10 Depth=3
	s_wait_alu 0xfffe
	s_or_b32 exec_lo, exec_lo, s0
	s_add_co_i32 s39, s39, 32
	s_wait_loadcnt 0x0
	s_wait_storecnt 0x0
	s_wait_alu 0xfffe
	s_cmp_ge_i32 s39, s29
	s_barrier_signal -1
	s_barrier_wait -1
	global_inv scope:SCOPE_SE
	s_cbranch_scc1 .LBB4_6
.LBB4_10:                               ;   Parent Loop BB4_4 Depth=1
                                        ;     Parent Loop BB4_7 Depth=2
                                        ; =>    This Inner Loop Header: Depth=3
	s_wait_alu 0xfffe
	v_add_nc_u32_e32 v4, s39, v5
	s_delay_alu instid0(VALU_DEP_1) | instskip(SKIP_1) | instid1(VALU_DEP_1)
	v_cndmask_b32_e64 v3, v4, v0, s3
	v_cndmask_b32_e64 v20, v0, v4, s3
	v_cmp_gt_i32_e64 s0, v3, v20
	v_mov_b32_e32 v20, 0
	s_wait_alu 0xf1ff
	s_delay_alu instid0(VALU_DEP_2) | instskip(SKIP_1) | instid1(VALU_DEP_1)
	v_cndmask_b32_e64 v3, v0, v4, s0
	v_cndmask_b32_e64 v4, v4, v0, s0
	v_max_i32_e32 v21, v3, v4
	s_delay_alu instid0(VALU_DEP_1)
	v_cmp_gt_i32_e64 s0, s29, v21
	v_mov_b32_e32 v21, 0
	s_and_saveexec_b32 s40, s0
	s_cbranch_execz .LBB4_12
; %bb.11:                               ;   in Loop: Header=BB4_10 Depth=3
	v_ashrrev_i32_e32 v23, 31, v4
	v_mul_lo_u32 v24, s9, v4
	v_mad_co_u64_u32 v[21:22], null, s8, v4, 0
	s_delay_alu instid0(VALU_DEP_3) | instskip(NEXT) | instid1(VALU_DEP_1)
	v_mul_lo_u32 v4, s8, v23
	v_add3_u32 v22, v22, v4, v24
	v_ashrrev_i32_e32 v4, 31, v3
	s_delay_alu instid0(VALU_DEP_2) | instskip(NEXT) | instid1(VALU_DEP_2)
	v_lshlrev_b64_e32 v[21:22], 2, v[21:22]
	v_lshlrev_b64_e32 v[3:4], 2, v[3:4]
	s_delay_alu instid0(VALU_DEP_2) | instskip(SKIP_1) | instid1(VALU_DEP_3)
	v_add_co_u32 v21, s0, s14, v21
	s_wait_alu 0xf1ff
	v_add_co_ci_u32_e64 v22, null, s15, v22, s0
	s_delay_alu instid0(VALU_DEP_2) | instskip(SKIP_1) | instid1(VALU_DEP_2)
	v_add_co_u32 v3, s0, v21, v3
	s_wait_alu 0xf1ff
	v_add_co_ci_u32_e64 v4, null, v22, v4, s0
	global_load_b32 v21, v[3:4], off
.LBB4_12:                               ;   in Loop: Header=BB4_10 Depth=3
	s_or_b32 exec_lo, exec_lo, s40
	v_add_nc_u32_e32 v3, s39, v6
	s_wait_loadcnt 0x0
	ds_store_b32 v9, v21
	v_cmp_gt_i32_e64 s0, s29, v3
	s_and_b32 s0, s0, vcc_lo
	s_wait_alu 0xfffe
	s_and_saveexec_b32 s40, s0
	s_cbranch_execz .LBB4_14
; %bb.13:                               ;   in Loop: Header=BB4_10 Depth=3
	v_ashrrev_i32_e32 v4, 31, v3
	s_delay_alu instid0(VALU_DEP_1) | instskip(NEXT) | instid1(VALU_DEP_1)
	v_lshlrev_b64_e32 v[3:4], 2, v[3:4]
	v_add_co_u32 v3, s0, v18, v3
	s_wait_alu 0xf1ff
	s_delay_alu instid0(VALU_DEP_2)
	v_add_co_ci_u32_e64 v4, null, v19, v4, s0
	global_load_b32 v20, v[3:4], off
.LBB4_14:                               ;   in Loop: Header=BB4_10 Depth=3
	s_or_b32 exec_lo, exec_lo, s40
	s_wait_loadcnt 0x0
	ds_store_b32 v10, v20
	s_wait_dscnt 0x0
	s_barrier_signal -1
	s_barrier_wait -1
	global_inv scope:SCOPE_SE
	s_and_saveexec_b32 s0, s38
	s_cbranch_execz .LBB4_9
; %bb.15:                               ;   in Loop: Header=BB4_10 Depth=3
	global_load_b32 v32, v[1:2], off
	ds_load_b128 v[20:23], v7
	ds_load_2addr_b32 v[3:4], v8 offset1:32
	ds_load_2addr_b32 v[28:29], v8 offset0:64 offset1:96
	ds_load_b128 v[24:27], v7 offset:16
	ds_load_2addr_b32 v[30:31], v8 offset0:128 offset1:160
	s_wait_dscnt 0x3
	v_fma_f32 v33, v20, v3, 0
	s_delay_alu instid0(VALU_DEP_1) | instskip(SKIP_3) | instid1(VALU_DEP_1)
	v_fmac_f32_e32 v33, v21, v4
	ds_load_2addr_b32 v[3:4], v8 offset0:192 offset1:224
	s_wait_dscnt 0x3
	v_fmac_f32_e32 v33, v22, v28
	v_fmac_f32_e32 v33, v23, v29
	ds_load_b128 v[20:23], v7 offset:32
	ds_load_2addr_b32 v[28:29], v11 offset1:32
	s_wait_dscnt 0x3
	v_fmac_f32_e32 v33, v24, v30
	s_delay_alu instid0(VALU_DEP_1) | instskip(SKIP_3) | instid1(VALU_DEP_1)
	v_fmac_f32_e32 v33, v25, v31
	ds_load_2addr_b32 v[30:31], v11 offset0:64 offset1:96
	s_wait_dscnt 0x3
	v_fmac_f32_e32 v33, v26, v3
	v_fmac_f32_e32 v33, v27, v4
	ds_load_b128 v[24:27], v7 offset:48
	ds_load_2addr_b32 v[3:4], v11 offset0:128 offset1:160
	s_wait_dscnt 0x3
	v_fmac_f32_e32 v33, v20, v28
	s_delay_alu instid0(VALU_DEP_1) | instskip(SKIP_3) | instid1(VALU_DEP_1)
	v_fmac_f32_e32 v33, v21, v29
	ds_load_2addr_b32 v[28:29], v11 offset0:192 offset1:224
	s_wait_dscnt 0x3
	v_fmac_f32_e32 v33, v22, v30
	v_fmac_f32_e32 v33, v23, v31
	ds_load_b128 v[20:23], v7 offset:64
	ds_load_2addr_b32 v[30:31], v12 offset1:32
	s_wait_dscnt 0x3
	v_fmac_f32_e32 v33, v24, v3
	s_delay_alu instid0(VALU_DEP_1) | instskip(SKIP_3) | instid1(VALU_DEP_1)
	v_fmac_f32_e32 v33, v25, v4
	ds_load_2addr_b32 v[3:4], v12 offset0:64 offset1:96
	s_wait_dscnt 0x3
	v_fmac_f32_e32 v33, v26, v28
	v_fmac_f32_e32 v33, v27, v29
	ds_load_b128 v[24:27], v7 offset:80
	ds_load_2addr_b32 v[28:29], v12 offset0:128 offset1:160
	s_wait_dscnt 0x3
	v_fmac_f32_e32 v33, v20, v30
	s_delay_alu instid0(VALU_DEP_1) | instskip(SKIP_3) | instid1(VALU_DEP_1)
	v_fmac_f32_e32 v33, v21, v31
	ds_load_2addr_b32 v[30:31], v12 offset0:192 offset1:224
	s_wait_dscnt 0x3
	v_fmac_f32_e32 v33, v22, v3
	v_fmac_f32_e32 v33, v23, v4
	ds_load_b128 v[20:23], v7 offset:96
	ds_load_2addr_b32 v[3:4], v15 offset1:32
	s_wait_dscnt 0x3
	v_fmac_f32_e32 v33, v24, v28
	s_delay_alu instid0(VALU_DEP_1) | instskip(SKIP_3) | instid1(VALU_DEP_1)
	v_fmac_f32_e32 v33, v25, v29
	ds_load_2addr_b32 v[28:29], v15 offset0:64 offset1:96
	s_wait_dscnt 0x3
	v_fmac_f32_e32 v33, v26, v30
	v_fmac_f32_e32 v33, v27, v31
	ds_load_b128 v[24:27], v7 offset:112
	ds_load_2addr_b32 v[30:31], v15 offset0:128 offset1:160
	s_wait_dscnt 0x3
	v_fmac_f32_e32 v33, v20, v3
	s_delay_alu instid0(VALU_DEP_1) | instskip(SKIP_3) | instid1(VALU_DEP_1)
	v_fmac_f32_e32 v33, v21, v4
	ds_load_2addr_b32 v[3:4], v15 offset0:192 offset1:224
	s_wait_dscnt 0x3
	v_fmac_f32_e32 v33, v22, v28
	v_fmac_f32_e32 v33, v23, v29
	s_wait_dscnt 0x1
	s_delay_alu instid0(VALU_DEP_1) | instskip(NEXT) | instid1(VALU_DEP_1)
	v_fmac_f32_e32 v33, v24, v30
	v_fmac_f32_e32 v33, v25, v31
	s_wait_dscnt 0x0
	s_delay_alu instid0(VALU_DEP_1) | instskip(NEXT) | instid1(VALU_DEP_1)
	v_fmac_f32_e32 v33, v26, v3
	v_fmac_f32_e32 v33, v27, v4
	s_wait_loadcnt 0x0
	s_delay_alu instid0(VALU_DEP_1)
	v_fmac_f32_e32 v32, s31, v33
	global_store_b32 v[1:2], v32, off
	s_branch .LBB4_9
.LBB4_16:
	s_endpgm
	.section	.rodata,"a",@progbits
	.p2align	6, 0x0
	.amdhsa_kernel _ZL24rocblas_symm_hemm_kernelILb0ELb0ELi32EfPKfPfEvbiiT2_T3_lllS4_lllT4_llli
		.amdhsa_group_segment_fixed_size 8192
		.amdhsa_private_segment_fixed_size 0
		.amdhsa_kernarg_size 376
		.amdhsa_user_sgpr_count 2
		.amdhsa_user_sgpr_dispatch_ptr 0
		.amdhsa_user_sgpr_queue_ptr 0
		.amdhsa_user_sgpr_kernarg_segment_ptr 1
		.amdhsa_user_sgpr_dispatch_id 0
		.amdhsa_user_sgpr_private_segment_size 0
		.amdhsa_wavefront_size32 1
		.amdhsa_uses_dynamic_stack 0
		.amdhsa_enable_private_segment 0
		.amdhsa_system_sgpr_workgroup_id_x 1
		.amdhsa_system_sgpr_workgroup_id_y 1
		.amdhsa_system_sgpr_workgroup_id_z 1
		.amdhsa_system_sgpr_workgroup_info 0
		.amdhsa_system_vgpr_workitem_id 1
		.amdhsa_next_free_vgpr 34
		.amdhsa_next_free_sgpr 41
		.amdhsa_reserve_vcc 1
		.amdhsa_float_round_mode_32 0
		.amdhsa_float_round_mode_16_64 0
		.amdhsa_float_denorm_mode_32 3
		.amdhsa_float_denorm_mode_16_64 3
		.amdhsa_fp16_overflow 0
		.amdhsa_workgroup_processor_mode 1
		.amdhsa_memory_ordered 1
		.amdhsa_forward_progress 1
		.amdhsa_inst_pref_size 12
		.amdhsa_round_robin_scheduling 0
		.amdhsa_exception_fp_ieee_invalid_op 0
		.amdhsa_exception_fp_denorm_src 0
		.amdhsa_exception_fp_ieee_div_zero 0
		.amdhsa_exception_fp_ieee_overflow 0
		.amdhsa_exception_fp_ieee_underflow 0
		.amdhsa_exception_fp_ieee_inexact 0
		.amdhsa_exception_int_div_zero 0
	.end_amdhsa_kernel
	.section	.text._ZL24rocblas_symm_hemm_kernelILb0ELb0ELi32EfPKfPfEvbiiT2_T3_lllS4_lllT4_llli,"axG",@progbits,_ZL24rocblas_symm_hemm_kernelILb0ELb0ELi32EfPKfPfEvbiiT2_T3_lllS4_lllT4_llli,comdat
.Lfunc_end4:
	.size	_ZL24rocblas_symm_hemm_kernelILb0ELb0ELi32EfPKfPfEvbiiT2_T3_lllS4_lllT4_llli, .Lfunc_end4-_ZL24rocblas_symm_hemm_kernelILb0ELb0ELi32EfPKfPfEvbiiT2_T3_lllS4_lllT4_llli
                                        ; -- End function
	.set _ZL24rocblas_symm_hemm_kernelILb0ELb0ELi32EfPKfPfEvbiiT2_T3_lllS4_lllT4_llli.num_vgpr, 34
	.set _ZL24rocblas_symm_hemm_kernelILb0ELb0ELi32EfPKfPfEvbiiT2_T3_lllS4_lllT4_llli.num_agpr, 0
	.set _ZL24rocblas_symm_hemm_kernelILb0ELb0ELi32EfPKfPfEvbiiT2_T3_lllS4_lllT4_llli.numbered_sgpr, 41
	.set _ZL24rocblas_symm_hemm_kernelILb0ELb0ELi32EfPKfPfEvbiiT2_T3_lllS4_lllT4_llli.num_named_barrier, 0
	.set _ZL24rocblas_symm_hemm_kernelILb0ELb0ELi32EfPKfPfEvbiiT2_T3_lllS4_lllT4_llli.private_seg_size, 0
	.set _ZL24rocblas_symm_hemm_kernelILb0ELb0ELi32EfPKfPfEvbiiT2_T3_lllS4_lllT4_llli.uses_vcc, 1
	.set _ZL24rocblas_symm_hemm_kernelILb0ELb0ELi32EfPKfPfEvbiiT2_T3_lllS4_lllT4_llli.uses_flat_scratch, 0
	.set _ZL24rocblas_symm_hemm_kernelILb0ELb0ELi32EfPKfPfEvbiiT2_T3_lllS4_lllT4_llli.has_dyn_sized_stack, 0
	.set _ZL24rocblas_symm_hemm_kernelILb0ELb0ELi32EfPKfPfEvbiiT2_T3_lllS4_lllT4_llli.has_recursion, 0
	.set _ZL24rocblas_symm_hemm_kernelILb0ELb0ELi32EfPKfPfEvbiiT2_T3_lllS4_lllT4_llli.has_indirect_call, 0
	.section	.AMDGPU.csdata,"",@progbits
; Kernel info:
; codeLenInByte = 1464
; TotalNumSgprs: 43
; NumVgprs: 34
; ScratchSize: 0
; MemoryBound: 0
; FloatMode: 240
; IeeeMode: 1
; LDSByteSize: 8192 bytes/workgroup (compile time only)
; SGPRBlocks: 0
; VGPRBlocks: 4
; NumSGPRsForWavesPerEU: 43
; NumVGPRsForWavesPerEU: 34
; Occupancy: 16
; WaveLimiterHint : 0
; COMPUTE_PGM_RSRC2:SCRATCH_EN: 0
; COMPUTE_PGM_RSRC2:USER_SGPR: 2
; COMPUTE_PGM_RSRC2:TRAP_HANDLER: 0
; COMPUTE_PGM_RSRC2:TGID_X_EN: 1
; COMPUTE_PGM_RSRC2:TGID_Y_EN: 1
; COMPUTE_PGM_RSRC2:TGID_Z_EN: 1
; COMPUTE_PGM_RSRC2:TIDIG_COMP_CNT: 1
	.section	.text._ZL24rocblas_symm_hemm_kernelILb0ELb1ELi32EfPKfPfEvbiiT2_T3_lllS4_lllT4_llli,"axG",@progbits,_ZL24rocblas_symm_hemm_kernelILb0ELb1ELi32EfPKfPfEvbiiT2_T3_lllS4_lllT4_llli,comdat
	.globl	_ZL24rocblas_symm_hemm_kernelILb0ELb1ELi32EfPKfPfEvbiiT2_T3_lllS4_lllT4_llli ; -- Begin function _ZL24rocblas_symm_hemm_kernelILb0ELb1ELi32EfPKfPfEvbiiT2_T3_lllS4_lllT4_llli
	.p2align	8
	.type	_ZL24rocblas_symm_hemm_kernelILb0ELb1ELi32EfPKfPfEvbiiT2_T3_lllS4_lllT4_llli,@function
_ZL24rocblas_symm_hemm_kernelILb0ELb1ELi32EfPKfPfEvbiiT2_T3_lllS4_lllT4_llli: ; @_ZL24rocblas_symm_hemm_kernelILb0ELb1ELi32EfPKfPfEvbiiT2_T3_lllS4_lllT4_llli
; %bb.0:
	s_load_b128 s[28:31], s[0:1], 0x0
	s_wait_kmcnt 0x0
	s_cmp_eq_f32 s31, 0
	s_cbranch_scc1 .LBB5_16
; %bb.1:
	s_load_b32 s33, s[0:1], 0x70
	s_lshr_b32 s34, ttmp7, 16
	s_wait_kmcnt 0x0
	s_cmp_ge_u32 s34, s33
	s_cbranch_scc1 .LBB5_16
; %bb.2:
	s_clause 0x1
	s_load_b512 s[4:19], s[0:1], 0x10
	s_load_b256 s[20:27], s[0:1], 0x50
	v_and_b32_e32 v4, 0x3ff, v0
	v_bfe_u32 v5, v0, 10, 10
	s_delay_alu instid0(VALU_DEP_2) | instskip(NEXT) | instid1(VALU_DEP_2)
	v_lshl_add_u32 v0, ttmp9, 5, v4
	v_lshlrev_b32_e32 v2, 2, v5
	v_lshlrev_b32_e32 v6, 7, v4
	s_delay_alu instid0(VALU_DEP_3) | instskip(SKIP_1) | instid1(VALU_DEP_4)
	v_ashrrev_i32_e32 v1, 31, v0
	v_cmp_gt_i32_e64 s2, s29, v0
	v_or_b32_e32 v7, 0x1000, v2
	s_delay_alu instid0(VALU_DEP_4) | instskip(NEXT) | instid1(VALU_DEP_4)
	v_add_nc_u32_e32 v8, v6, v2
	v_lshlrev_b64_e32 v[0:1], 2, v[0:1]
	s_delay_alu instid0(VALU_DEP_3)
	v_add_nc_u32_e32 v9, v7, v6
	s_wait_kmcnt 0x0
	s_lshl_b64 s[6:7], s[6:7], 2
	s_bitcmp1_b32 s28, 0
	v_add_nc_u32_e32 v14, 0x400, v7
	s_cselect_b32 s3, -1, 0
	s_add_co_i32 s35, s30, -1
	s_lshl_b64 s[28:29], s[14:15], 2
	s_ashr_i32 s14, s35, 31
	s_lshl_b64 s[22:23], s[22:23], 2
	s_lshr_b32 s15, s14, 27
	s_wait_alu 0xfffe
	s_add_nc_u64 s[12:13], s[12:13], s[28:29]
	s_add_co_i32 s35, s35, s15
	s_add_nc_u64 s[22:23], s[20:21], s[22:23]
	v_add_co_u32 v10, vcc_lo, s12, v0
	s_and_b32 s14, ttmp7, 0xffff
	s_ashr_i32 s15, s35, 5
	v_add_co_ci_u32_e64 v11, null, s13, v1, vcc_lo
	v_add_co_u32 v12, vcc_lo, s22, v0
	s_cmp_le_i32 s14, s15
	s_wait_alu 0xfffd
	v_add_co_ci_u32_e64 v13, null, s23, v1, vcc_lo
	v_add_nc_u32_e32 v15, 0x800, v7
	v_add_nc_u32_e32 v16, 0xc00, v7
	s_cselect_b32 s20, -1, 0
	s_cmp_gt_i32 s30, 0
	s_add_nc_u64 s[4:5], s[4:5], s[6:7]
	s_cselect_b32 s21, -1, 0
	s_mov_b32 s35, 0
	s_add_nc_u64 s[6:7], s[0:1], 0x78
	s_branch .LBB5_4
.LBB5_3:                                ;   in Loop: Header=BB5_4 Depth=1
	s_add_co_i32 s34, s34, 0x10000
	s_delay_alu instid0(SALU_CYCLE_1)
	s_cmp_lt_u32 s34, s33
	s_cbranch_scc0 .LBB5_16
.LBB5_4:                                ; =>This Loop Header: Depth=1
                                        ;     Child Loop BB5_7 Depth 2
                                        ;       Child Loop BB5_10 Depth 3
	s_and_not1_b32 vcc_lo, exec_lo, s20
	s_wait_alu 0xfffe
	s_cbranch_vccnz .LBB5_3
; %bb.5:                                ;   in Loop: Header=BB5_4 Depth=1
	s_load_b32 s1, s[6:7], 0x4
	s_mul_u64 s[22:23], s[18:19], s[34:35]
	s_mul_u64 s[28:29], s[26:27], s[34:35]
	s_wait_alu 0xfffe
	s_lshl_b64 s[22:23], s[22:23], 2
	s_mul_u64 s[12:13], s[10:11], s[34:35]
	s_wait_alu 0xfffe
	v_add_co_u32 v17, vcc_lo, v10, s22
	s_wait_alu 0xfffd
	v_add_co_ci_u32_e64 v18, null, s23, v11, vcc_lo
	s_lshl_b64 s[22:23], s[28:29], 2
	s_lshl_b64 s[12:13], s[12:13], 2
	s_wait_alu 0xfffe
	v_add_co_u32 v19, vcc_lo, v12, s22
	s_wait_alu 0xfffd
	v_add_co_ci_u32_e64 v20, null, s23, v13, vcc_lo
	s_add_nc_u64 s[12:13], s[4:5], s[12:13]
	s_mov_b32 s22, s14
	s_branch .LBB5_7
.LBB5_6:                                ;   in Loop: Header=BB5_7 Depth=2
	s_wait_kmcnt 0x0
	s_add_co_i32 s22, s22, s1
	s_wait_alu 0xfffe
	s_cmp_gt_i32 s22, s15
	s_cbranch_scc1 .LBB5_3
.LBB5_7:                                ;   Parent Loop BB5_4 Depth=1
                                        ; =>  This Loop Header: Depth=2
                                        ;       Child Loop BB5_10 Depth 3
	s_and_not1_b32 vcc_lo, exec_lo, s21
	s_wait_alu 0xfffe
	s_cbranch_vccnz .LBB5_6
; %bb.8:                                ;   in Loop: Header=BB5_7 Depth=2
	v_lshl_add_u32 v21, s22, 5, v5
	s_mov_b32 s23, 0
	s_delay_alu instid0(VALU_DEP_1) | instskip(SKIP_3) | instid1(VALU_DEP_4)
	v_ashrrev_i32_e32 v2, 31, v21
	v_mul_lo_u32 v3, s25, v21
	v_mad_co_u64_u32 v[0:1], null, s24, v21, 0
	v_cmp_gt_i32_e32 vcc_lo, s30, v21
	v_mul_lo_u32 v2, s24, v2
	s_delay_alu instid0(VALU_DEP_1) | instskip(NEXT) | instid1(VALU_DEP_1)
	v_add3_u32 v1, v1, v2, v3
	v_lshlrev_b64_e32 v[0:1], 2, v[0:1]
	s_delay_alu instid0(VALU_DEP_1) | instskip(SKIP_1) | instid1(VALU_DEP_2)
	v_add_co_u32 v0, s0, v19, v0
	s_wait_alu 0xf1ff
	v_add_co_ci_u32_e64 v1, null, v20, v1, s0
	s_and_b32 s0, s2, vcc_lo
	s_branch .LBB5_10
.LBB5_9:                                ;   in Loop: Header=BB5_10 Depth=3
	s_wait_alu 0xfffe
	s_or_b32 exec_lo, exec_lo, s28
	s_add_co_i32 s23, s23, 32
	s_wait_loadcnt 0x0
	s_wait_storecnt 0x0
	s_wait_alu 0xfffe
	s_cmp_ge_i32 s23, s30
	s_barrier_signal -1
	s_barrier_wait -1
	global_inv scope:SCOPE_SE
	s_cbranch_scc1 .LBB5_6
.LBB5_10:                               ;   Parent Loop BB5_4 Depth=1
                                        ;     Parent Loop BB5_7 Depth=2
                                        ; =>    This Inner Loop Header: Depth=3
	s_wait_alu 0xfffe
	v_dual_mov_b32 v3, 0 :: v_dual_add_nc_u32 v2, s23, v5
	v_mov_b32_e32 v22, 0
	s_delay_alu instid0(VALU_DEP_2)
	v_cmp_gt_i32_e32 vcc_lo, s30, v2
	s_and_b32 s29, s2, vcc_lo
	s_wait_alu 0xfffe
	s_and_saveexec_b32 s28, s29
	s_cbranch_execz .LBB5_12
; %bb.11:                               ;   in Loop: Header=BB5_10 Depth=3
	v_ashrrev_i32_e32 v24, 31, v2
	v_mul_lo_u32 v25, s17, v2
	v_mad_co_u64_u32 v[22:23], null, s16, v2, 0
	s_delay_alu instid0(VALU_DEP_3) | instskip(NEXT) | instid1(VALU_DEP_1)
	v_mul_lo_u32 v2, s16, v24
	v_add3_u32 v23, v23, v2, v25
	s_delay_alu instid0(VALU_DEP_1) | instskip(NEXT) | instid1(VALU_DEP_1)
	v_lshlrev_b64_e32 v[22:23], 2, v[22:23]
	v_add_co_u32 v22, vcc_lo, v17, v22
	s_wait_alu 0xfffd
	s_delay_alu instid0(VALU_DEP_2)
	v_add_co_ci_u32_e64 v23, null, v18, v23, vcc_lo
	global_load_b32 v22, v[22:23], off
.LBB5_12:                               ;   in Loop: Header=BB5_10 Depth=3
	s_wait_alu 0xfffe
	s_or_b32 exec_lo, exec_lo, s28
	v_add_nc_u32_e32 v23, s23, v4
	s_mov_b32 s28, exec_lo
	s_wait_loadcnt 0x0
	ds_store_b32 v8, v22
	v_cndmask_b32_e64 v2, v21, v23, s3
	v_cndmask_b32_e64 v24, v23, v21, s3
	s_delay_alu instid0(VALU_DEP_1) | instskip(SKIP_2) | instid1(VALU_DEP_1)
	v_cmp_gt_i32_e32 vcc_lo, v2, v24
	s_wait_alu 0xfffd
	v_dual_cndmask_b32 v2, v23, v21 :: v_dual_cndmask_b32 v23, v21, v23
	v_max_i32_e32 v24, v2, v23
	s_delay_alu instid0(VALU_DEP_1)
	v_cmpx_gt_i32_e64 s30, v24
	s_cbranch_execz .LBB5_14
; %bb.13:                               ;   in Loop: Header=BB5_10 Depth=3
	v_ashrrev_i32_e32 v3, 31, v23
	v_mul_lo_u32 v24, s9, v23
	v_mad_co_u64_u32 v[22:23], null, s8, v23, 0
	s_delay_alu instid0(VALU_DEP_3) | instskip(NEXT) | instid1(VALU_DEP_1)
	v_mul_lo_u32 v3, s8, v3
	v_add3_u32 v23, v23, v3, v24
	v_ashrrev_i32_e32 v3, 31, v2
	s_delay_alu instid0(VALU_DEP_2) | instskip(NEXT) | instid1(VALU_DEP_2)
	v_lshlrev_b64_e32 v[22:23], 2, v[22:23]
	v_lshlrev_b64_e32 v[2:3], 2, v[2:3]
	s_delay_alu instid0(VALU_DEP_2) | instskip(SKIP_1) | instid1(VALU_DEP_3)
	v_add_co_u32 v22, vcc_lo, s12, v22
	s_wait_alu 0xfffd
	v_add_co_ci_u32_e64 v23, null, s13, v23, vcc_lo
	s_delay_alu instid0(VALU_DEP_2) | instskip(SKIP_1) | instid1(VALU_DEP_2)
	v_add_co_u32 v2, vcc_lo, v22, v2
	s_wait_alu 0xfffd
	v_add_co_ci_u32_e64 v3, null, v23, v3, vcc_lo
	global_load_b32 v3, v[2:3], off
.LBB5_14:                               ;   in Loop: Header=BB5_10 Depth=3
	s_wait_alu 0xfffe
	s_or_b32 exec_lo, exec_lo, s28
	s_wait_loadcnt 0x0
	ds_store_b32 v9, v3
	s_wait_dscnt 0x0
	s_barrier_signal -1
	s_barrier_wait -1
	global_inv scope:SCOPE_SE
	s_and_saveexec_b32 s28, s0
	s_cbranch_execz .LBB5_9
; %bb.15:                               ;   in Loop: Header=BB5_10 Depth=3
	global_load_b32 v34, v[0:1], off
	ds_load_b128 v[22:25], v6
	ds_load_2addr_b32 v[2:3], v7 offset1:32
	ds_load_2addr_b32 v[30:31], v7 offset0:64 offset1:96
	ds_load_b128 v[26:29], v6 offset:16
	ds_load_2addr_b32 v[32:33], v7 offset0:128 offset1:160
	s_wait_dscnt 0x3
	v_fma_f32 v35, v22, v2, 0
	s_delay_alu instid0(VALU_DEP_1) | instskip(SKIP_3) | instid1(VALU_DEP_1)
	v_fmac_f32_e32 v35, v23, v3
	ds_load_2addr_b32 v[2:3], v7 offset0:192 offset1:224
	s_wait_dscnt 0x3
	v_fmac_f32_e32 v35, v24, v30
	v_fmac_f32_e32 v35, v25, v31
	ds_load_b128 v[22:25], v6 offset:32
	ds_load_2addr_b32 v[30:31], v14 offset1:32
	s_wait_dscnt 0x3
	v_fmac_f32_e32 v35, v26, v32
	s_delay_alu instid0(VALU_DEP_1) | instskip(SKIP_3) | instid1(VALU_DEP_1)
	v_fmac_f32_e32 v35, v27, v33
	ds_load_2addr_b32 v[32:33], v14 offset0:64 offset1:96
	s_wait_dscnt 0x3
	v_fmac_f32_e32 v35, v28, v2
	v_fmac_f32_e32 v35, v29, v3
	ds_load_b128 v[26:29], v6 offset:48
	ds_load_2addr_b32 v[2:3], v14 offset0:128 offset1:160
	s_wait_dscnt 0x3
	v_fmac_f32_e32 v35, v22, v30
	s_delay_alu instid0(VALU_DEP_1) | instskip(SKIP_3) | instid1(VALU_DEP_1)
	v_fmac_f32_e32 v35, v23, v31
	ds_load_2addr_b32 v[30:31], v14 offset0:192 offset1:224
	s_wait_dscnt 0x3
	v_fmac_f32_e32 v35, v24, v32
	v_fmac_f32_e32 v35, v25, v33
	ds_load_b128 v[22:25], v6 offset:64
	ds_load_2addr_b32 v[32:33], v15 offset1:32
	s_wait_dscnt 0x3
	v_fmac_f32_e32 v35, v26, v2
	s_delay_alu instid0(VALU_DEP_1) | instskip(SKIP_3) | instid1(VALU_DEP_1)
	v_fmac_f32_e32 v35, v27, v3
	ds_load_2addr_b32 v[2:3], v15 offset0:64 offset1:96
	s_wait_dscnt 0x3
	v_fmac_f32_e32 v35, v28, v30
	v_fmac_f32_e32 v35, v29, v31
	ds_load_b128 v[26:29], v6 offset:80
	ds_load_2addr_b32 v[30:31], v15 offset0:128 offset1:160
	s_wait_dscnt 0x3
	v_fmac_f32_e32 v35, v22, v32
	;; [unrolled: 20-line block ×3, first 2 shown]
	s_delay_alu instid0(VALU_DEP_1) | instskip(SKIP_3) | instid1(VALU_DEP_1)
	v_fmac_f32_e32 v35, v23, v3
	ds_load_2addr_b32 v[2:3], v16 offset0:192 offset1:224
	s_wait_dscnt 0x3
	v_fmac_f32_e32 v35, v24, v30
	v_fmac_f32_e32 v35, v25, v31
	s_wait_dscnt 0x1
	s_delay_alu instid0(VALU_DEP_1) | instskip(NEXT) | instid1(VALU_DEP_1)
	v_fmac_f32_e32 v35, v26, v32
	v_fmac_f32_e32 v35, v27, v33
	s_wait_dscnt 0x0
	s_delay_alu instid0(VALU_DEP_1) | instskip(NEXT) | instid1(VALU_DEP_1)
	v_fmac_f32_e32 v35, v28, v2
	v_fmac_f32_e32 v35, v29, v3
	s_wait_loadcnt 0x0
	s_delay_alu instid0(VALU_DEP_1)
	v_fmac_f32_e32 v34, s31, v35
	global_store_b32 v[0:1], v34, off
	s_branch .LBB5_9
.LBB5_16:
	s_endpgm
	.section	.rodata,"a",@progbits
	.p2align	6, 0x0
	.amdhsa_kernel _ZL24rocblas_symm_hemm_kernelILb0ELb1ELi32EfPKfPfEvbiiT2_T3_lllS4_lllT4_llli
		.amdhsa_group_segment_fixed_size 8192
		.amdhsa_private_segment_fixed_size 0
		.amdhsa_kernarg_size 376
		.amdhsa_user_sgpr_count 2
		.amdhsa_user_sgpr_dispatch_ptr 0
		.amdhsa_user_sgpr_queue_ptr 0
		.amdhsa_user_sgpr_kernarg_segment_ptr 1
		.amdhsa_user_sgpr_dispatch_id 0
		.amdhsa_user_sgpr_private_segment_size 0
		.amdhsa_wavefront_size32 1
		.amdhsa_uses_dynamic_stack 0
		.amdhsa_enable_private_segment 0
		.amdhsa_system_sgpr_workgroup_id_x 1
		.amdhsa_system_sgpr_workgroup_id_y 1
		.amdhsa_system_sgpr_workgroup_id_z 1
		.amdhsa_system_sgpr_workgroup_info 0
		.amdhsa_system_vgpr_workitem_id 1
		.amdhsa_next_free_vgpr 36
		.amdhsa_next_free_sgpr 36
		.amdhsa_reserve_vcc 1
		.amdhsa_float_round_mode_32 0
		.amdhsa_float_round_mode_16_64 0
		.amdhsa_float_denorm_mode_32 3
		.amdhsa_float_denorm_mode_16_64 3
		.amdhsa_fp16_overflow 0
		.amdhsa_workgroup_processor_mode 1
		.amdhsa_memory_ordered 1
		.amdhsa_forward_progress 1
		.amdhsa_inst_pref_size 12
		.amdhsa_round_robin_scheduling 0
		.amdhsa_exception_fp_ieee_invalid_op 0
		.amdhsa_exception_fp_denorm_src 0
		.amdhsa_exception_fp_ieee_div_zero 0
		.amdhsa_exception_fp_ieee_overflow 0
		.amdhsa_exception_fp_ieee_underflow 0
		.amdhsa_exception_fp_ieee_inexact 0
		.amdhsa_exception_int_div_zero 0
	.end_amdhsa_kernel
	.section	.text._ZL24rocblas_symm_hemm_kernelILb0ELb1ELi32EfPKfPfEvbiiT2_T3_lllS4_lllT4_llli,"axG",@progbits,_ZL24rocblas_symm_hemm_kernelILb0ELb1ELi32EfPKfPfEvbiiT2_T3_lllS4_lllT4_llli,comdat
.Lfunc_end5:
	.size	_ZL24rocblas_symm_hemm_kernelILb0ELb1ELi32EfPKfPfEvbiiT2_T3_lllS4_lllT4_llli, .Lfunc_end5-_ZL24rocblas_symm_hemm_kernelILb0ELb1ELi32EfPKfPfEvbiiT2_T3_lllS4_lllT4_llli
                                        ; -- End function
	.set _ZL24rocblas_symm_hemm_kernelILb0ELb1ELi32EfPKfPfEvbiiT2_T3_lllS4_lllT4_llli.num_vgpr, 36
	.set _ZL24rocblas_symm_hemm_kernelILb0ELb1ELi32EfPKfPfEvbiiT2_T3_lllS4_lllT4_llli.num_agpr, 0
	.set _ZL24rocblas_symm_hemm_kernelILb0ELb1ELi32EfPKfPfEvbiiT2_T3_lllS4_lllT4_llli.numbered_sgpr, 36
	.set _ZL24rocblas_symm_hemm_kernelILb0ELb1ELi32EfPKfPfEvbiiT2_T3_lllS4_lllT4_llli.num_named_barrier, 0
	.set _ZL24rocblas_symm_hemm_kernelILb0ELb1ELi32EfPKfPfEvbiiT2_T3_lllS4_lllT4_llli.private_seg_size, 0
	.set _ZL24rocblas_symm_hemm_kernelILb0ELb1ELi32EfPKfPfEvbiiT2_T3_lllS4_lllT4_llli.uses_vcc, 1
	.set _ZL24rocblas_symm_hemm_kernelILb0ELb1ELi32EfPKfPfEvbiiT2_T3_lllS4_lllT4_llli.uses_flat_scratch, 0
	.set _ZL24rocblas_symm_hemm_kernelILb0ELb1ELi32EfPKfPfEvbiiT2_T3_lllS4_lllT4_llli.has_dyn_sized_stack, 0
	.set _ZL24rocblas_symm_hemm_kernelILb0ELb1ELi32EfPKfPfEvbiiT2_T3_lllS4_lllT4_llli.has_recursion, 0
	.set _ZL24rocblas_symm_hemm_kernelILb0ELb1ELi32EfPKfPfEvbiiT2_T3_lllS4_lllT4_llli.has_indirect_call, 0
	.section	.AMDGPU.csdata,"",@progbits
; Kernel info:
; codeLenInByte = 1456
; TotalNumSgprs: 38
; NumVgprs: 36
; ScratchSize: 0
; MemoryBound: 0
; FloatMode: 240
; IeeeMode: 1
; LDSByteSize: 8192 bytes/workgroup (compile time only)
; SGPRBlocks: 0
; VGPRBlocks: 4
; NumSGPRsForWavesPerEU: 38
; NumVGPRsForWavesPerEU: 36
; Occupancy: 16
; WaveLimiterHint : 0
; COMPUTE_PGM_RSRC2:SCRATCH_EN: 0
; COMPUTE_PGM_RSRC2:USER_SGPR: 2
; COMPUTE_PGM_RSRC2:TRAP_HANDLER: 0
; COMPUTE_PGM_RSRC2:TGID_X_EN: 1
; COMPUTE_PGM_RSRC2:TGID_Y_EN: 1
; COMPUTE_PGM_RSRC2:TGID_Z_EN: 1
; COMPUTE_PGM_RSRC2:TIDIG_COMP_CNT: 1
	.section	.text._ZL25rocblas_symm_scale_kernelILi128ELi8EPKdPdEviiT1_T2_llli,"axG",@progbits,_ZL25rocblas_symm_scale_kernelILi128ELi8EPKdPdEviiT1_T2_llli,comdat
	.globl	_ZL25rocblas_symm_scale_kernelILi128ELi8EPKdPdEviiT1_T2_llli ; -- Begin function _ZL25rocblas_symm_scale_kernelILi128ELi8EPKdPdEviiT1_T2_llli
	.p2align	8
	.type	_ZL25rocblas_symm_scale_kernelILi128ELi8EPKdPdEviiT1_T2_llli,@function
_ZL25rocblas_symm_scale_kernelILi128ELi8EPKdPdEviiT1_T2_llli: ; @_ZL25rocblas_symm_scale_kernelILi128ELi8EPKdPdEviiT1_T2_llli
; %bb.0:
	s_load_b256 s[4:11], s[0:1], 0x8
	s_wait_kmcnt 0x0
	s_load_b64 s[2:3], s[4:5], 0x0
	s_wait_kmcnt 0x0
	v_cmp_eq_f64_e64 s4, s[2:3], 1.0
	s_and_b32 vcc_lo, exec_lo, s4
	s_cbranch_vccnz .LBB6_10
; %bb.1:
	s_load_b32 s16, s[0:1], 0x30
	s_lshr_b32 s17, ttmp7, 16
	s_wait_kmcnt 0x0
	s_cmp_ge_u32 s17, s16
	s_cbranch_scc1 .LBB6_10
; %bb.2:
	v_bfe_u32 v1, v0, 10, 10
	s_and_b32 s4, ttmp7, 0xffff
	v_cmp_neq_f64_e64 s18, s[2:3], 0
	s_clause 0x1
	s_load_b64 s[12:13], s[0:1], 0x0
	s_load_b64 s[14:15], s[0:1], 0x28
	v_lshl_add_u32 v1, s4, 3, v1
	v_and_b32_e32 v0, 0x3ff, v0
	s_add_nc_u64 s[4:5], s[0:1], 56
	s_lshl_b64 s[0:1], s[8:9], 3
	s_delay_alu instid0(VALU_DEP_2) | instskip(NEXT) | instid1(VALU_DEP_1)
	v_mad_co_u64_u32 v[3:4], null, s10, v1, 0
	v_mov_b32_e32 v2, v4
	s_wait_kmcnt 0x0
	s_ashr_i32 s9, s13, 31
	s_delay_alu instid0(VALU_DEP_1)
	v_mad_co_u64_u32 v[4:5], null, s11, v1, v[2:3]
	v_mov_b32_e32 v2, 0
	v_lshl_add_u32 v5, ttmp9, 7, v0
	s_mov_b32 s8, s13
	s_lshl_b64 s[10:11], s[10:11], 3
	s_mov_b32 s13, 0
	v_mov_b32_e32 v6, v2
	s_delay_alu instid0(VALU_DEP_4) | instskip(SKIP_1) | instid1(VALU_DEP_3)
	v_lshlrev_b64_e32 v[3:4], 3, v[3:4]
	v_cmp_gt_i64_e32 vcc_lo, s[8:9], v[1:2]
	v_lshlrev_b64_e32 v[6:7], 3, v[5:6]
	s_delay_alu instid0(VALU_DEP_3) | instskip(SKIP_1) | instid1(VALU_DEP_4)
	v_add_co_u32 v0, s0, v3, s0
	s_wait_alu 0xf1ff
	v_add_co_ci_u32_e64 v3, null, s1, v4, s0
	v_cmp_gt_u32_e64 s0, s12, v5
	s_delay_alu instid0(VALU_DEP_3) | instskip(SKIP_1) | instid1(VALU_DEP_3)
	v_add_co_u32 v0, s1, v0, v6
	s_wait_alu 0xf1ff
	v_add_co_ci_u32_e64 v4, null, v3, v7, s1
	s_and_b32 s1, s0, vcc_lo
	v_add_co_u32 v3, vcc_lo, s6, v0
	s_delay_alu instid0(VALU_DEP_1)
	v_add_co_ci_u32_e64 v4, null, s7, v4, vcc_lo
	s_lshl_b64 s[6:7], s[14:15], 3
	s_branch .LBB6_4
.LBB6_3:                                ;   in Loop: Header=BB6_4 Depth=1
	s_or_b32 exec_lo, exec_lo, s19
	s_add_co_i32 s17, s17, 0x10000
	s_wait_alu 0xfffe
	s_cmp_lt_u32 s17, s16
	s_cbranch_scc0 .LBB6_10
.LBB6_4:                                ; =>This Loop Header: Depth=1
                                        ;     Child Loop BB6_8 Depth 2
	s_wait_alu 0xfffe
	s_and_saveexec_b32 s19, s1
	s_cbranch_execz .LBB6_3
; %bb.5:                                ;   in Loop: Header=BB6_4 Depth=1
	s_load_b32 s0, s[4:5], 0x4
	v_mad_co_u64_u32 v[5:6], null, s6, s17, v[3:4]
	s_mov_b32 s20, 0
	v_mov_b32_e32 v0, v6
	s_delay_alu instid0(VALU_DEP_1)
	v_mad_co_u64_u32 v[6:7], null, s7, s17, v[0:1]
	v_dual_mov_b32 v8, v2 :: v_dual_mov_b32 v7, v1
	s_wait_kmcnt 0x0
	s_lshl_b32 s12, s0, 3
	s_wait_alu 0xfffe
	s_mul_u64 s[14:15], s[10:11], s[12:13]
	s_branch .LBB6_8
.LBB6_6:                                ;   in Loop: Header=BB6_8 Depth=2
	global_load_b64 v[9:10], v[5:6], off
	s_wait_loadcnt 0x0
	v_mul_f64_e32 v[9:10], s[2:3], v[9:10]
.LBB6_7:                                ;   in Loop: Header=BB6_8 Depth=2
	v_add_co_u32 v7, vcc_lo, v7, s12
	s_wait_alu 0xfffd
	v_add_co_ci_u32_e64 v8, null, 0, v8, vcc_lo
	global_store_b64 v[5:6], v[9:10], off
	v_add_co_u32 v5, s0, v5, s14
	v_cmp_le_i64_e32 vcc_lo, s[8:9], v[7:8]
	s_wait_alu 0xf1ff
	v_add_co_ci_u32_e64 v6, null, s15, v6, s0
	s_or_b32 s20, vcc_lo, s20
	s_delay_alu instid0(SALU_CYCLE_1)
	s_and_not1_b32 exec_lo, exec_lo, s20
	s_cbranch_execz .LBB6_3
.LBB6_8:                                ;   Parent Loop BB6_4 Depth=1
                                        ; =>  This Inner Loop Header: Depth=2
	s_and_not1_b32 vcc_lo, exec_lo, s18
	s_wait_alu 0xfffe
	s_cbranch_vccz .LBB6_6
; %bb.9:                                ;   in Loop: Header=BB6_8 Depth=2
	v_mov_b32_e32 v9, 0
	v_mov_b32_e32 v10, 0
	s_branch .LBB6_7
.LBB6_10:
	s_endpgm
	.section	.rodata,"a",@progbits
	.p2align	6, 0x0
	.amdhsa_kernel _ZL25rocblas_symm_scale_kernelILi128ELi8EPKdPdEviiT1_T2_llli
		.amdhsa_group_segment_fixed_size 0
		.amdhsa_private_segment_fixed_size 0
		.amdhsa_kernarg_size 312
		.amdhsa_user_sgpr_count 2
		.amdhsa_user_sgpr_dispatch_ptr 0
		.amdhsa_user_sgpr_queue_ptr 0
		.amdhsa_user_sgpr_kernarg_segment_ptr 1
		.amdhsa_user_sgpr_dispatch_id 0
		.amdhsa_user_sgpr_private_segment_size 0
		.amdhsa_wavefront_size32 1
		.amdhsa_uses_dynamic_stack 0
		.amdhsa_enable_private_segment 0
		.amdhsa_system_sgpr_workgroup_id_x 1
		.amdhsa_system_sgpr_workgroup_id_y 1
		.amdhsa_system_sgpr_workgroup_id_z 1
		.amdhsa_system_sgpr_workgroup_info 0
		.amdhsa_system_vgpr_workitem_id 1
		.amdhsa_next_free_vgpr 11
		.amdhsa_next_free_sgpr 21
		.amdhsa_reserve_vcc 1
		.amdhsa_float_round_mode_32 0
		.amdhsa_float_round_mode_16_64 0
		.amdhsa_float_denorm_mode_32 3
		.amdhsa_float_denorm_mode_16_64 3
		.amdhsa_fp16_overflow 0
		.amdhsa_workgroup_processor_mode 1
		.amdhsa_memory_ordered 1
		.amdhsa_forward_progress 1
		.amdhsa_inst_pref_size 5
		.amdhsa_round_robin_scheduling 0
		.amdhsa_exception_fp_ieee_invalid_op 0
		.amdhsa_exception_fp_denorm_src 0
		.amdhsa_exception_fp_ieee_div_zero 0
		.amdhsa_exception_fp_ieee_overflow 0
		.amdhsa_exception_fp_ieee_underflow 0
		.amdhsa_exception_fp_ieee_inexact 0
		.amdhsa_exception_int_div_zero 0
	.end_amdhsa_kernel
	.section	.text._ZL25rocblas_symm_scale_kernelILi128ELi8EPKdPdEviiT1_T2_llli,"axG",@progbits,_ZL25rocblas_symm_scale_kernelILi128ELi8EPKdPdEviiT1_T2_llli,comdat
.Lfunc_end6:
	.size	_ZL25rocblas_symm_scale_kernelILi128ELi8EPKdPdEviiT1_T2_llli, .Lfunc_end6-_ZL25rocblas_symm_scale_kernelILi128ELi8EPKdPdEviiT1_T2_llli
                                        ; -- End function
	.set _ZL25rocblas_symm_scale_kernelILi128ELi8EPKdPdEviiT1_T2_llli.num_vgpr, 11
	.set _ZL25rocblas_symm_scale_kernelILi128ELi8EPKdPdEviiT1_T2_llli.num_agpr, 0
	.set _ZL25rocblas_symm_scale_kernelILi128ELi8EPKdPdEviiT1_T2_llli.numbered_sgpr, 21
	.set _ZL25rocblas_symm_scale_kernelILi128ELi8EPKdPdEviiT1_T2_llli.num_named_barrier, 0
	.set _ZL25rocblas_symm_scale_kernelILi128ELi8EPKdPdEviiT1_T2_llli.private_seg_size, 0
	.set _ZL25rocblas_symm_scale_kernelILi128ELi8EPKdPdEviiT1_T2_llli.uses_vcc, 1
	.set _ZL25rocblas_symm_scale_kernelILi128ELi8EPKdPdEviiT1_T2_llli.uses_flat_scratch, 0
	.set _ZL25rocblas_symm_scale_kernelILi128ELi8EPKdPdEviiT1_T2_llli.has_dyn_sized_stack, 0
	.set _ZL25rocblas_symm_scale_kernelILi128ELi8EPKdPdEviiT1_T2_llli.has_recursion, 0
	.set _ZL25rocblas_symm_scale_kernelILi128ELi8EPKdPdEviiT1_T2_llli.has_indirect_call, 0
	.section	.AMDGPU.csdata,"",@progbits
; Kernel info:
; codeLenInByte = 520
; TotalNumSgprs: 23
; NumVgprs: 11
; ScratchSize: 0
; MemoryBound: 1
; FloatMode: 240
; IeeeMode: 1
; LDSByteSize: 0 bytes/workgroup (compile time only)
; SGPRBlocks: 0
; VGPRBlocks: 1
; NumSGPRsForWavesPerEU: 23
; NumVGPRsForWavesPerEU: 11
; Occupancy: 16
; WaveLimiterHint : 0
; COMPUTE_PGM_RSRC2:SCRATCH_EN: 0
; COMPUTE_PGM_RSRC2:USER_SGPR: 2
; COMPUTE_PGM_RSRC2:TRAP_HANDLER: 0
; COMPUTE_PGM_RSRC2:TGID_X_EN: 1
; COMPUTE_PGM_RSRC2:TGID_Y_EN: 1
; COMPUTE_PGM_RSRC2:TGID_Z_EN: 1
; COMPUTE_PGM_RSRC2:TIDIG_COMP_CNT: 1
	.section	.text._ZL24rocblas_symm_hemm_kernelILb0ELb0ELi32EPKdS1_PdEvbiiT2_T3_lllS4_lllT4_llli,"axG",@progbits,_ZL24rocblas_symm_hemm_kernelILb0ELb0ELi32EPKdS1_PdEvbiiT2_T3_lllS4_lllT4_llli,comdat
	.globl	_ZL24rocblas_symm_hemm_kernelILb0ELb0ELi32EPKdS1_PdEvbiiT2_T3_lllS4_lllT4_llli ; -- Begin function _ZL24rocblas_symm_hemm_kernelILb0ELb0ELi32EPKdS1_PdEvbiiT2_T3_lllS4_lllT4_llli
	.p2align	8
	.type	_ZL24rocblas_symm_hemm_kernelILb0ELb0ELi32EPKdS1_PdEvbiiT2_T3_lllS4_lllT4_llli,@function
_ZL24rocblas_symm_hemm_kernelILb0ELb0ELi32EPKdS1_PdEvbiiT2_T3_lllS4_lllT4_llli: ; @_ZL24rocblas_symm_hemm_kernelILb0ELb0ELi32EPKdS1_PdEvbiiT2_T3_lllS4_lllT4_llli
; %bb.0:
	s_load_b512 s[4:19], s[0:1], 0x10
	s_wait_kmcnt 0x0
	s_load_b64 s[4:5], s[4:5], 0x0
	s_wait_kmcnt 0x0
	v_cmp_eq_f64_e64 s2, s[4:5], 0
	s_and_b32 vcc_lo, exec_lo, s2
	s_cbranch_vccnz .LBB7_16
; %bb.1:
	s_load_b32 s31, s[0:1], 0x78
	s_lshr_b32 s34, ttmp7, 16
	s_wait_kmcnt 0x0
	s_cmp_ge_u32 s34, s31
	s_cbranch_scc1 .LBB7_16
; %bb.2:
	s_clause 0x1
	s_load_b96 s[28:30], s[0:1], 0x0
	s_load_b256 s[20:27], s[0:1], 0x50
	v_bfe_u32 v8, v0, 10, 10
	v_and_b32_e32 v9, 0x3ff, v0
	s_lshl_b64 s[2:3], s[8:9], 3
	s_load_b64 s[8:9], s[0:1], 0x70
	s_lshl_b64 s[16:17], s[16:17], 3
	v_lshlrev_b32_e32 v1, 3, v8
	v_lshlrev_b32_e32 v10, 8, v9
	v_lshl_add_u32 v0, ttmp9, 5, v9
	s_add_nc_u64 s[6:7], s[6:7], s[2:3]
	s_add_nc_u64 s[14:15], s[14:15], s[16:17]
	v_or_b32_e32 v11, 0x2000, v1
	v_add_nc_u32_e32 v12, v10, v1
	v_ashrrev_i32_e32 v1, 31, v0
	s_mov_b32 s35, 0
	s_add_nc_u64 s[16:17], s[0:1], 0x80
	v_add_nc_u32_e32 v13, v11, v10
	v_add_nc_u32_e32 v16, 0x800, v11
	v_lshlrev_b64_e32 v[1:2], 3, v[0:1]
	s_wait_kmcnt 0x0
	s_bitcmp1_b32 s28, 0
	v_cmp_gt_i32_e64 s3, s29, v0
	s_cselect_b32 s2, -1, 0
	s_add_co_i32 s28, s30, -1
	s_lshl_b64 s[24:25], s[24:25], 3
	s_wait_alu 0xfffe
	s_ashr_i32 s33, s28, 31
	s_add_nc_u64 s[22:23], s[22:23], s[24:25]
	s_lshr_b32 s33, s33, 27
	v_add_co_u32 v14, vcc_lo, s22, v1
	s_add_co_i32 s33, s28, s33
	s_and_b32 s28, ttmp7, 0xffff
	s_ashr_i32 s33, s33, 5
	v_add_co_ci_u32_e64 v15, null, s23, v2, vcc_lo
	s_wait_alu 0xfffe
	s_cmp_le_i32 s28, s33
	v_add_nc_u32_e32 v17, 0x1000, v11
	v_add_nc_u32_e32 v18, 0x1800, v11
	s_cselect_b32 s36, -1, 0
	s_cmp_gt_i32 s29, 0
	s_cselect_b32 s37, -1, 0
	s_branch .LBB7_4
.LBB7_3:                                ;   in Loop: Header=BB7_4 Depth=1
	s_add_co_i32 s34, s34, 0x10000
	s_delay_alu instid0(SALU_CYCLE_1)
	s_cmp_lt_u32 s34, s31
	s_cbranch_scc0 .LBB7_16
.LBB7_4:                                ; =>This Loop Header: Depth=1
                                        ;     Child Loop BB7_7 Depth 2
                                        ;       Child Loop BB7_10 Depth 3
	s_and_not1_b32 vcc_lo, exec_lo, s36
	s_wait_alu 0xfffe
	s_cbranch_vccnz .LBB7_3
; %bb.5:                                ;   in Loop: Header=BB7_4 Depth=1
	s_load_b32 s1, s[16:17], 0x4
	s_mul_u64 s[38:39], s[8:9], s[34:35]
	s_mul_u64 s[22:23], s[12:13], s[34:35]
	s_wait_alu 0xfffe
	s_lshl_b64 s[38:39], s[38:39], 3
	s_mul_u64 s[24:25], s[20:21], s[34:35]
	s_wait_alu 0xfffe
	v_add_co_u32 v19, vcc_lo, v14, s38
	s_wait_alu 0xfffd
	v_add_co_ci_u32_e64 v20, null, s39, v15, vcc_lo
	s_lshl_b64 s[22:23], s[22:23], 3
	s_lshl_b64 s[24:25], s[24:25], 3
	s_wait_alu 0xfffe
	s_add_nc_u64 s[22:23], s[6:7], s[22:23]
	s_add_nc_u64 s[24:25], s[14:15], s[24:25]
	s_mov_b32 s38, s28
	s_branch .LBB7_7
.LBB7_6:                                ;   in Loop: Header=BB7_7 Depth=2
	s_wait_kmcnt 0x0
	s_add_co_i32 s38, s38, s1
	s_wait_alu 0xfffe
	s_cmp_gt_i32 s38, s33
	s_cbranch_scc1 .LBB7_3
.LBB7_7:                                ;   Parent Loop BB7_4 Depth=1
                                        ; =>  This Loop Header: Depth=2
                                        ;       Child Loop BB7_10 Depth 3
	s_and_not1_b32 vcc_lo, exec_lo, s37
	s_wait_alu 0xfffe
	s_cbranch_vccnz .LBB7_6
; %bb.8:                                ;   in Loop: Header=BB7_7 Depth=2
	v_lshl_add_u32 v5, s38, 5, v8
	s_mov_b32 s40, 0
	s_delay_alu instid0(VALU_DEP_1) | instskip(SKIP_3) | instid1(VALU_DEP_4)
	v_ashrrev_i32_e32 v6, 31, v5
	v_mul_lo_u32 v7, s19, v5
	v_mad_co_u64_u32 v[1:2], null, s18, v5, 0
	v_mul_lo_u32 v22, s27, v5
	v_mul_lo_u32 v21, s18, v6
	v_mad_co_u64_u32 v[3:4], null, s26, v5, 0
	v_mul_lo_u32 v6, s26, v6
	v_cmp_gt_i32_e32 vcc_lo, s30, v5
	s_delay_alu instid0(VALU_DEP_4) | instskip(SKIP_1) | instid1(VALU_DEP_3)
	v_add3_u32 v2, v2, v21, v7
	s_and_b32 s39, s3, vcc_lo
	v_add3_u32 v4, v4, v6, v22
	s_delay_alu instid0(VALU_DEP_2) | instskip(NEXT) | instid1(VALU_DEP_2)
	v_lshlrev_b64_e32 v[1:2], 3, v[1:2]
	v_lshlrev_b64_e32 v[3:4], 3, v[3:4]
	s_delay_alu instid0(VALU_DEP_2) | instskip(SKIP_1) | instid1(VALU_DEP_3)
	v_add_co_u32 v21, s0, s24, v1
	s_wait_alu 0xf1ff
	v_add_co_ci_u32_e64 v22, null, s25, v2, s0
	s_delay_alu instid0(VALU_DEP_3)
	v_add_co_u32 v1, s0, v19, v3
	s_wait_alu 0xf1ff
	v_add_co_ci_u32_e64 v2, null, v20, v4, s0
	s_branch .LBB7_10
.LBB7_9:                                ;   in Loop: Header=BB7_10 Depth=3
	s_wait_alu 0xfffe
	s_or_b32 exec_lo, exec_lo, s0
	s_add_co_i32 s40, s40, 32
	s_wait_loadcnt 0x0
	s_wait_storecnt 0x0
	s_wait_alu 0xfffe
	s_cmp_ge_i32 s40, s29
	s_barrier_signal -1
	s_barrier_wait -1
	global_inv scope:SCOPE_SE
	s_cbranch_scc1 .LBB7_6
.LBB7_10:                               ;   Parent Loop BB7_4 Depth=1
                                        ;     Parent Loop BB7_7 Depth=2
                                        ; =>    This Inner Loop Header: Depth=3
	s_wait_alu 0xfffe
	v_dual_mov_b32 v6, 0 :: v_dual_add_nc_u32 v3, s40, v8
	s_mov_b32 s41, exec_lo
	v_mov_b32_e32 v7, 0
	s_delay_alu instid0(VALU_DEP_2) | instskip(SKIP_1) | instid1(VALU_DEP_1)
	v_cndmask_b32_e64 v4, v3, v0, s2
	v_cndmask_b32_e64 v5, v0, v3, s2
	v_cmp_gt_i32_e64 s0, v4, v5
	s_wait_alu 0xf1ff
	s_delay_alu instid0(VALU_DEP_1) | instskip(SKIP_3) | instid1(VALU_DEP_3)
	v_cndmask_b32_e64 v5, v0, v3, s0
	v_cndmask_b32_e64 v23, v3, v0, s0
	v_mov_b32_e32 v3, 0
	v_mov_b32_e32 v4, 0
	v_max_i32_e32 v24, v5, v23
	s_delay_alu instid0(VALU_DEP_1)
	v_cmpx_gt_i32_e64 s29, v24
	s_cbranch_execz .LBB7_12
; %bb.11:                               ;   in Loop: Header=BB7_10 Depth=3
	v_ashrrev_i32_e32 v6, 31, v23
	v_mul_lo_u32 v7, s11, v23
	v_mad_co_u64_u32 v[23:24], null, s10, v23, 0
	s_delay_alu instid0(VALU_DEP_3) | instskip(NEXT) | instid1(VALU_DEP_1)
	v_mul_lo_u32 v6, s10, v6
	v_add3_u32 v24, v24, v6, v7
	v_ashrrev_i32_e32 v6, 31, v5
	s_delay_alu instid0(VALU_DEP_2) | instskip(NEXT) | instid1(VALU_DEP_2)
	v_lshlrev_b64_e32 v[23:24], 3, v[23:24]
	v_lshlrev_b64_e32 v[5:6], 3, v[5:6]
	s_delay_alu instid0(VALU_DEP_2) | instskip(SKIP_1) | instid1(VALU_DEP_3)
	v_add_co_u32 v7, s0, s22, v23
	s_wait_alu 0xf1ff
	v_add_co_ci_u32_e64 v23, null, s23, v24, s0
	s_delay_alu instid0(VALU_DEP_2) | instskip(SKIP_1) | instid1(VALU_DEP_2)
	v_add_co_u32 v5, s0, v7, v5
	s_wait_alu 0xf1ff
	v_add_co_ci_u32_e64 v6, null, v23, v6, s0
	global_load_b64 v[6:7], v[5:6], off
.LBB7_12:                               ;   in Loop: Header=BB7_10 Depth=3
	s_wait_alu 0xfffe
	s_or_b32 exec_lo, exec_lo, s41
	v_add_nc_u32_e32 v5, s40, v9
	s_wait_loadcnt 0x0
	ds_store_b64 v12, v[6:7]
	v_cmp_gt_i32_e64 s0, s29, v5
	s_and_b32 s0, s0, vcc_lo
	s_wait_alu 0xfffe
	s_and_saveexec_b32 s41, s0
	s_cbranch_execz .LBB7_14
; %bb.13:                               ;   in Loop: Header=BB7_10 Depth=3
	v_ashrrev_i32_e32 v6, 31, v5
	s_delay_alu instid0(VALU_DEP_1) | instskip(NEXT) | instid1(VALU_DEP_1)
	v_lshlrev_b64_e32 v[3:4], 3, v[5:6]
	v_add_co_u32 v3, s0, v21, v3
	s_wait_alu 0xf1ff
	s_delay_alu instid0(VALU_DEP_2)
	v_add_co_ci_u32_e64 v4, null, v22, v4, s0
	global_load_b64 v[3:4], v[3:4], off
.LBB7_14:                               ;   in Loop: Header=BB7_10 Depth=3
	s_wait_alu 0xfffe
	s_or_b32 exec_lo, exec_lo, s41
	s_wait_loadcnt 0x0
	ds_store_b64 v13, v[3:4]
	s_wait_dscnt 0x0
	s_barrier_signal -1
	s_barrier_wait -1
	global_inv scope:SCOPE_SE
	s_and_saveexec_b32 s0, s39
	s_cbranch_execz .LBB7_9
; %bb.15:                               ;   in Loop: Header=BB7_10 Depth=3
	ds_load_2addr_b64 v[3:6], v11 offset1:32
	ds_load_b128 v[23:26], v10
	ds_load_b128 v[27:30], v10 offset:16
	s_wait_dscnt 0x1
	v_fma_f64 v[3:4], v[23:24], v[3:4], 0
	s_delay_alu instid0(VALU_DEP_1) | instskip(SKIP_3) | instid1(VALU_DEP_1)
	v_fma_f64 v[23:24], v[25:26], v[5:6], v[3:4]
	ds_load_2addr_b64 v[3:6], v11 offset0:64 offset1:96
	s_wait_dscnt 0x0
	v_fma_f64 v[3:4], v[27:28], v[3:4], v[23:24]
	v_fma_f64 v[31:32], v[29:30], v[5:6], v[3:4]
	ds_load_2addr_b64 v[3:6], v11 offset0:128 offset1:160
	ds_load_b128 v[23:26], v10 offset:32
	ds_load_b128 v[27:30], v10 offset:48
	s_wait_dscnt 0x1
	v_fma_f64 v[3:4], v[23:24], v[3:4], v[31:32]
	s_delay_alu instid0(VALU_DEP_1) | instskip(SKIP_3) | instid1(VALU_DEP_1)
	v_fma_f64 v[23:24], v[25:26], v[5:6], v[3:4]
	ds_load_2addr_b64 v[3:6], v11 offset0:192 offset1:224
	s_wait_dscnt 0x0
	v_fma_f64 v[3:4], v[27:28], v[3:4], v[23:24]
	v_fma_f64 v[31:32], v[29:30], v[5:6], v[3:4]
	ds_load_2addr_b64 v[3:6], v16 offset1:32
	ds_load_b128 v[23:26], v10 offset:64
	ds_load_b128 v[27:30], v10 offset:80
	s_wait_dscnt 0x1
	v_fma_f64 v[3:4], v[23:24], v[3:4], v[31:32]
	s_delay_alu instid0(VALU_DEP_1) | instskip(SKIP_3) | instid1(VALU_DEP_1)
	v_fma_f64 v[23:24], v[25:26], v[5:6], v[3:4]
	ds_load_2addr_b64 v[3:6], v16 offset0:64 offset1:96
	s_wait_dscnt 0x0
	v_fma_f64 v[3:4], v[27:28], v[3:4], v[23:24]
	v_fma_f64 v[31:32], v[29:30], v[5:6], v[3:4]
	ds_load_2addr_b64 v[3:6], v16 offset0:128 offset1:160
	ds_load_b128 v[23:26], v10 offset:96
	ds_load_b128 v[27:30], v10 offset:112
	s_wait_dscnt 0x1
	v_fma_f64 v[3:4], v[23:24], v[3:4], v[31:32]
	s_delay_alu instid0(VALU_DEP_1) | instskip(SKIP_3) | instid1(VALU_DEP_1)
	v_fma_f64 v[23:24], v[25:26], v[5:6], v[3:4]
	ds_load_2addr_b64 v[3:6], v16 offset0:192 offset1:224
	s_wait_dscnt 0x0
	v_fma_f64 v[3:4], v[27:28], v[3:4], v[23:24]
	v_fma_f64 v[31:32], v[29:30], v[5:6], v[3:4]
	ds_load_2addr_b64 v[3:6], v17 offset1:32
	ds_load_b128 v[23:26], v10 offset:128
	ds_load_b128 v[27:30], v10 offset:144
	s_wait_dscnt 0x1
	v_fma_f64 v[3:4], v[23:24], v[3:4], v[31:32]
	s_delay_alu instid0(VALU_DEP_1) | instskip(SKIP_3) | instid1(VALU_DEP_1)
	v_fma_f64 v[23:24], v[25:26], v[5:6], v[3:4]
	ds_load_2addr_b64 v[3:6], v17 offset0:64 offset1:96
	s_wait_dscnt 0x0
	v_fma_f64 v[3:4], v[27:28], v[3:4], v[23:24]
	v_fma_f64 v[31:32], v[29:30], v[5:6], v[3:4]
	ds_load_2addr_b64 v[3:6], v17 offset0:128 offset1:160
	ds_load_b128 v[23:26], v10 offset:160
	ds_load_b128 v[27:30], v10 offset:176
	s_wait_dscnt 0x1
	v_fma_f64 v[3:4], v[23:24], v[3:4], v[31:32]
	s_delay_alu instid0(VALU_DEP_1) | instskip(SKIP_3) | instid1(VALU_DEP_1)
	v_fma_f64 v[23:24], v[25:26], v[5:6], v[3:4]
	ds_load_2addr_b64 v[3:6], v17 offset0:192 offset1:224
	s_wait_dscnt 0x0
	v_fma_f64 v[3:4], v[27:28], v[3:4], v[23:24]
	v_fma_f64 v[31:32], v[29:30], v[5:6], v[3:4]
	ds_load_b128 v[3:6], v10 offset:192
	ds_load_2addr_b64 v[23:26], v18 offset1:32
	global_load_b64 v[33:34], v[1:2], off
	ds_load_b128 v[27:30], v10 offset:208
	s_wait_dscnt 0x1
	v_fma_f64 v[3:4], v[3:4], v[23:24], v[31:32]
	s_delay_alu instid0(VALU_DEP_1) | instskip(SKIP_3) | instid1(VALU_DEP_1)
	v_fma_f64 v[23:24], v[5:6], v[25:26], v[3:4]
	ds_load_2addr_b64 v[3:6], v18 offset0:64 offset1:96
	s_wait_dscnt 0x0
	v_fma_f64 v[3:4], v[27:28], v[3:4], v[23:24]
	v_fma_f64 v[31:32], v[29:30], v[5:6], v[3:4]
	ds_load_2addr_b64 v[3:6], v18 offset0:128 offset1:160
	ds_load_b128 v[23:26], v10 offset:224
	ds_load_b128 v[27:30], v10 offset:240
	s_wait_dscnt 0x1
	v_fma_f64 v[3:4], v[23:24], v[3:4], v[31:32]
	s_delay_alu instid0(VALU_DEP_1) | instskip(SKIP_3) | instid1(VALU_DEP_1)
	v_fma_f64 v[23:24], v[25:26], v[5:6], v[3:4]
	ds_load_2addr_b64 v[3:6], v18 offset0:192 offset1:224
	s_wait_dscnt 0x0
	v_fma_f64 v[3:4], v[27:28], v[3:4], v[23:24]
	v_fma_f64 v[3:4], v[29:30], v[5:6], v[3:4]
	s_wait_loadcnt 0x0
	s_delay_alu instid0(VALU_DEP_1)
	v_fma_f64 v[3:4], s[4:5], v[3:4], v[33:34]
	global_store_b64 v[1:2], v[3:4], off
	s_branch .LBB7_9
.LBB7_16:
	s_endpgm
	.section	.rodata,"a",@progbits
	.p2align	6, 0x0
	.amdhsa_kernel _ZL24rocblas_symm_hemm_kernelILb0ELb0ELi32EPKdS1_PdEvbiiT2_T3_lllS4_lllT4_llli
		.amdhsa_group_segment_fixed_size 16384
		.amdhsa_private_segment_fixed_size 0
		.amdhsa_kernarg_size 384
		.amdhsa_user_sgpr_count 2
		.amdhsa_user_sgpr_dispatch_ptr 0
		.amdhsa_user_sgpr_queue_ptr 0
		.amdhsa_user_sgpr_kernarg_segment_ptr 1
		.amdhsa_user_sgpr_dispatch_id 0
		.amdhsa_user_sgpr_private_segment_size 0
		.amdhsa_wavefront_size32 1
		.amdhsa_uses_dynamic_stack 0
		.amdhsa_enable_private_segment 0
		.amdhsa_system_sgpr_workgroup_id_x 1
		.amdhsa_system_sgpr_workgroup_id_y 1
		.amdhsa_system_sgpr_workgroup_id_z 1
		.amdhsa_system_sgpr_workgroup_info 0
		.amdhsa_system_vgpr_workitem_id 1
		.amdhsa_next_free_vgpr 35
		.amdhsa_next_free_sgpr 42
		.amdhsa_reserve_vcc 1
		.amdhsa_float_round_mode_32 0
		.amdhsa_float_round_mode_16_64 0
		.amdhsa_float_denorm_mode_32 3
		.amdhsa_float_denorm_mode_16_64 3
		.amdhsa_fp16_overflow 0
		.amdhsa_workgroup_processor_mode 1
		.amdhsa_memory_ordered 1
		.amdhsa_forward_progress 1
		.amdhsa_inst_pref_size 14
		.amdhsa_round_robin_scheduling 0
		.amdhsa_exception_fp_ieee_invalid_op 0
		.amdhsa_exception_fp_denorm_src 0
		.amdhsa_exception_fp_ieee_div_zero 0
		.amdhsa_exception_fp_ieee_overflow 0
		.amdhsa_exception_fp_ieee_underflow 0
		.amdhsa_exception_fp_ieee_inexact 0
		.amdhsa_exception_int_div_zero 0
	.end_amdhsa_kernel
	.section	.text._ZL24rocblas_symm_hemm_kernelILb0ELb0ELi32EPKdS1_PdEvbiiT2_T3_lllS4_lllT4_llli,"axG",@progbits,_ZL24rocblas_symm_hemm_kernelILb0ELb0ELi32EPKdS1_PdEvbiiT2_T3_lllS4_lllT4_llli,comdat
.Lfunc_end7:
	.size	_ZL24rocblas_symm_hemm_kernelILb0ELb0ELi32EPKdS1_PdEvbiiT2_T3_lllS4_lllT4_llli, .Lfunc_end7-_ZL24rocblas_symm_hemm_kernelILb0ELb0ELi32EPKdS1_PdEvbiiT2_T3_lllS4_lllT4_llli
                                        ; -- End function
	.set _ZL24rocblas_symm_hemm_kernelILb0ELb0ELi32EPKdS1_PdEvbiiT2_T3_lllS4_lllT4_llli.num_vgpr, 35
	.set _ZL24rocblas_symm_hemm_kernelILb0ELb0ELi32EPKdS1_PdEvbiiT2_T3_lllS4_lllT4_llli.num_agpr, 0
	.set _ZL24rocblas_symm_hemm_kernelILb0ELb0ELi32EPKdS1_PdEvbiiT2_T3_lllS4_lllT4_llli.numbered_sgpr, 42
	.set _ZL24rocblas_symm_hemm_kernelILb0ELb0ELi32EPKdS1_PdEvbiiT2_T3_lllS4_lllT4_llli.num_named_barrier, 0
	.set _ZL24rocblas_symm_hemm_kernelILb0ELb0ELi32EPKdS1_PdEvbiiT2_T3_lllS4_lllT4_llli.private_seg_size, 0
	.set _ZL24rocblas_symm_hemm_kernelILb0ELb0ELi32EPKdS1_PdEvbiiT2_T3_lllS4_lllT4_llli.uses_vcc, 1
	.set _ZL24rocblas_symm_hemm_kernelILb0ELb0ELi32EPKdS1_PdEvbiiT2_T3_lllS4_lllT4_llli.uses_flat_scratch, 0
	.set _ZL24rocblas_symm_hemm_kernelILb0ELb0ELi32EPKdS1_PdEvbiiT2_T3_lllS4_lllT4_llli.has_dyn_sized_stack, 0
	.set _ZL24rocblas_symm_hemm_kernelILb0ELb0ELi32EPKdS1_PdEvbiiT2_T3_lllS4_lllT4_llli.has_recursion, 0
	.set _ZL24rocblas_symm_hemm_kernelILb0ELb0ELi32EPKdS1_PdEvbiiT2_T3_lllS4_lllT4_llli.has_indirect_call, 0
	.section	.AMDGPU.csdata,"",@progbits
; Kernel info:
; codeLenInByte = 1676
; TotalNumSgprs: 44
; NumVgprs: 35
; ScratchSize: 0
; MemoryBound: 0
; FloatMode: 240
; IeeeMode: 1
; LDSByteSize: 16384 bytes/workgroup (compile time only)
; SGPRBlocks: 0
; VGPRBlocks: 4
; NumSGPRsForWavesPerEU: 44
; NumVGPRsForWavesPerEU: 35
; Occupancy: 16
; WaveLimiterHint : 1
; COMPUTE_PGM_RSRC2:SCRATCH_EN: 0
; COMPUTE_PGM_RSRC2:USER_SGPR: 2
; COMPUTE_PGM_RSRC2:TRAP_HANDLER: 0
; COMPUTE_PGM_RSRC2:TGID_X_EN: 1
; COMPUTE_PGM_RSRC2:TGID_Y_EN: 1
; COMPUTE_PGM_RSRC2:TGID_Z_EN: 1
; COMPUTE_PGM_RSRC2:TIDIG_COMP_CNT: 1
	.section	.text._ZL24rocblas_symm_hemm_kernelILb0ELb1ELi32EPKdS1_PdEvbiiT2_T3_lllS4_lllT4_llli,"axG",@progbits,_ZL24rocblas_symm_hemm_kernelILb0ELb1ELi32EPKdS1_PdEvbiiT2_T3_lllS4_lllT4_llli,comdat
	.globl	_ZL24rocblas_symm_hemm_kernelILb0ELb1ELi32EPKdS1_PdEvbiiT2_T3_lllS4_lllT4_llli ; -- Begin function _ZL24rocblas_symm_hemm_kernelILb0ELb1ELi32EPKdS1_PdEvbiiT2_T3_lllS4_lllT4_llli
	.p2align	8
	.type	_ZL24rocblas_symm_hemm_kernelILb0ELb1ELi32EPKdS1_PdEvbiiT2_T3_lllS4_lllT4_llli,@function
_ZL24rocblas_symm_hemm_kernelILb0ELb1ELi32EPKdS1_PdEvbiiT2_T3_lllS4_lllT4_llli: ; @_ZL24rocblas_symm_hemm_kernelILb0ELb1ELi32EPKdS1_PdEvbiiT2_T3_lllS4_lllT4_llli
; %bb.0:
	s_load_b512 s[4:19], s[0:1], 0x10
	s_wait_kmcnt 0x0
	s_load_b64 s[4:5], s[4:5], 0x0
	s_wait_kmcnt 0x0
	v_cmp_eq_f64_e64 s2, s[4:5], 0
	s_and_b32 vcc_lo, exec_lo, s2
	s_cbranch_vccnz .LBB8_16
; %bb.1:
	s_load_b32 s31, s[0:1], 0x78
	s_lshr_b32 s34, ttmp7, 16
	s_wait_kmcnt 0x0
	s_cmp_ge_u32 s34, s31
	s_cbranch_scc1 .LBB8_16
; %bb.2:
	s_clause 0x1
	s_load_b96 s[28:30], s[0:1], 0x0
	s_load_b256 s[20:27], s[0:1], 0x50
	v_and_b32_e32 v7, 0x3ff, v0
	v_bfe_u32 v8, v0, 10, 10
	s_lshl_b64 s[36:37], s[8:9], 3
	s_load_b64 s[8:9], s[0:1], 0x70
	s_add_nc_u64 s[6:7], s[6:7], s[36:37]
	v_lshl_add_u32 v0, ttmp9, 5, v7
	v_lshlrev_b32_e32 v2, 3, v8
	v_lshlrev_b32_e32 v9, 8, v7
	s_delay_alu instid0(VALU_DEP_3) | instskip(NEXT) | instid1(VALU_DEP_3)
	v_ashrrev_i32_e32 v1, 31, v0
	v_or_b32_e32 v10, 0x2000, v2
	s_delay_alu instid0(VALU_DEP_3) | instskip(NEXT) | instid1(VALU_DEP_3)
	v_add_nc_u32_e32 v11, v9, v2
	v_lshlrev_b64_e32 v[1:2], 3, v[0:1]
	s_delay_alu instid0(VALU_DEP_3)
	v_add_nc_u32_e32 v12, v10, v9
	v_add_nc_u32_e32 v17, 0x800, v10
	s_wait_kmcnt 0x0
	s_bitcmp1_b32 s28, 0
	v_cmp_gt_i32_e64 s2, s29, v0
	s_cselect_b32 s3, -1, 0
	s_add_co_i32 s33, s30, -1
	s_lshl_b64 s[16:17], s[16:17], 3
	s_ashr_i32 s35, s33, 31
	s_lshl_b64 s[28:29], s[24:25], 3
	s_lshr_b32 s25, s35, 27
	s_add_nc_u64 s[14:15], s[14:15], s[16:17]
	s_add_co_i32 s33, s33, s25
	s_wait_alu 0xfffe
	s_add_nc_u64 s[16:17], s[22:23], s[28:29]
	v_add_co_u32 v13, vcc_lo, s14, v1
	s_and_b32 s24, ttmp7, 0xffff
	s_ashr_i32 s25, s33, 5
	v_add_co_ci_u32_e64 v14, null, s15, v2, vcc_lo
	v_add_co_u32 v15, vcc_lo, s16, v1
	s_cmp_le_i32 s24, s25
	s_wait_alu 0xfffd
	v_add_co_ci_u32_e64 v16, null, s17, v2, vcc_lo
	v_add_nc_u32_e32 v18, 0x1000, v10
	v_add_nc_u32_e32 v19, 0x1800, v10
	s_cselect_b32 s22, -1, 0
	s_cmp_gt_i32 s30, 0
	s_mov_b32 s35, 0
	s_cselect_b32 s23, -1, 0
	s_add_nc_u64 s[14:15], s[0:1], 0x80
	s_branch .LBB8_4
.LBB8_3:                                ;   in Loop: Header=BB8_4 Depth=1
	s_add_co_i32 s34, s34, 0x10000
	s_delay_alu instid0(SALU_CYCLE_1)
	s_cmp_lt_u32 s34, s31
	s_cbranch_scc0 .LBB8_16
.LBB8_4:                                ; =>This Loop Header: Depth=1
                                        ;     Child Loop BB8_7 Depth 2
                                        ;       Child Loop BB8_10 Depth 3
	s_and_not1_b32 vcc_lo, exec_lo, s22
	s_wait_alu 0xfffe
	s_cbranch_vccnz .LBB8_3
; %bb.5:                                ;   in Loop: Header=BB8_4 Depth=1
	s_load_b32 s1, s[14:15], 0x4
	s_mul_u64 s[28:29], s[20:21], s[34:35]
	s_mul_u64 s[36:37], s[8:9], s[34:35]
	s_wait_alu 0xfffe
	s_lshl_b64 s[28:29], s[28:29], 3
	s_mul_u64 s[16:17], s[12:13], s[34:35]
	s_wait_alu 0xfffe
	v_add_co_u32 v20, vcc_lo, v13, s28
	s_wait_alu 0xfffd
	v_add_co_ci_u32_e64 v21, null, s29, v14, vcc_lo
	s_lshl_b64 s[28:29], s[36:37], 3
	s_lshl_b64 s[16:17], s[16:17], 3
	s_wait_alu 0xfffe
	v_add_co_u32 v22, vcc_lo, v15, s28
	s_wait_alu 0xfffd
	v_add_co_ci_u32_e64 v23, null, s29, v16, vcc_lo
	s_add_nc_u64 s[16:17], s[6:7], s[16:17]
	s_mov_b32 s28, s24
	s_branch .LBB8_7
.LBB8_6:                                ;   in Loop: Header=BB8_7 Depth=2
	s_wait_kmcnt 0x0
	s_add_co_i32 s28, s28, s1
	s_wait_alu 0xfffe
	s_cmp_gt_i32 s28, s25
	s_cbranch_scc1 .LBB8_3
.LBB8_7:                                ;   Parent Loop BB8_4 Depth=1
                                        ; =>  This Loop Header: Depth=2
                                        ;       Child Loop BB8_10 Depth 3
	s_and_not1_b32 vcc_lo, exec_lo, s23
	s_wait_alu 0xfffe
	s_cbranch_vccnz .LBB8_6
; %bb.8:                                ;   in Loop: Header=BB8_7 Depth=2
	v_lshl_add_u32 v24, s28, 5, v8
	s_mov_b32 s29, 0
	s_delay_alu instid0(VALU_DEP_1) | instskip(SKIP_3) | instid1(VALU_DEP_4)
	v_ashrrev_i32_e32 v2, 31, v24
	v_mul_lo_u32 v3, s27, v24
	v_mad_co_u64_u32 v[0:1], null, s26, v24, 0
	v_cmp_gt_i32_e32 vcc_lo, s30, v24
	v_mul_lo_u32 v2, s26, v2
	s_delay_alu instid0(VALU_DEP_1) | instskip(NEXT) | instid1(VALU_DEP_1)
	v_add3_u32 v1, v1, v2, v3
	v_lshlrev_b64_e32 v[0:1], 3, v[0:1]
	s_delay_alu instid0(VALU_DEP_1) | instskip(SKIP_1) | instid1(VALU_DEP_2)
	v_add_co_u32 v0, s0, v22, v0
	s_wait_alu 0xf1ff
	v_add_co_ci_u32_e64 v1, null, v23, v1, s0
	s_and_b32 s0, s2, vcc_lo
	s_branch .LBB8_10
.LBB8_9:                                ;   in Loop: Header=BB8_10 Depth=3
	s_or_b32 exec_lo, exec_lo, s33
	s_add_co_i32 s29, s29, 32
	s_wait_loadcnt 0x0
	s_wait_storecnt 0x0
	s_wait_alu 0xfffe
	s_cmp_ge_i32 s29, s30
	s_barrier_signal -1
	s_barrier_wait -1
	global_inv scope:SCOPE_SE
	s_cbranch_scc1 .LBB8_6
.LBB8_10:                               ;   Parent Loop BB8_4 Depth=1
                                        ;     Parent Loop BB8_7 Depth=2
                                        ; =>    This Inner Loop Header: Depth=3
	s_wait_alu 0xfffe
	v_add_nc_u32_e32 v4, s29, v8
	v_dual_mov_b32 v2, 0 :: v_dual_mov_b32 v5, 0
	v_dual_mov_b32 v3, 0 :: v_dual_mov_b32 v6, 0
	s_delay_alu instid0(VALU_DEP_3) | instskip(SKIP_1) | instid1(SALU_CYCLE_1)
	v_cmp_gt_i32_e32 vcc_lo, s30, v4
	s_and_b32 s36, s2, vcc_lo
	s_and_saveexec_b32 s33, s36
	s_cbranch_execz .LBB8_12
; %bb.11:                               ;   in Loop: Header=BB8_10 Depth=3
	v_ashrrev_i32_e32 v6, 31, v4
	v_mul_lo_u32 v25, s19, v4
	v_mad_co_u64_u32 v[4:5], null, s18, v4, 0
	s_delay_alu instid0(VALU_DEP_3) | instskip(NEXT) | instid1(VALU_DEP_1)
	v_mul_lo_u32 v6, s18, v6
	v_add3_u32 v5, v5, v6, v25
	s_delay_alu instid0(VALU_DEP_1) | instskip(NEXT) | instid1(VALU_DEP_1)
	v_lshlrev_b64_e32 v[4:5], 3, v[4:5]
	v_add_co_u32 v4, vcc_lo, v20, v4
	s_wait_alu 0xfffd
	s_delay_alu instid0(VALU_DEP_2)
	v_add_co_ci_u32_e64 v5, null, v21, v5, vcc_lo
	global_load_b64 v[5:6], v[4:5], off
.LBB8_12:                               ;   in Loop: Header=BB8_10 Depth=3
	s_or_b32 exec_lo, exec_lo, s33
	v_add_nc_u32_e32 v25, s29, v7
	s_mov_b32 s33, exec_lo
	s_wait_loadcnt 0x0
	ds_store_b64 v11, v[5:6]
	v_cndmask_b32_e64 v4, v24, v25, s3
	v_cndmask_b32_e64 v26, v25, v24, s3
	s_delay_alu instid0(VALU_DEP_1) | instskip(SKIP_2) | instid1(VALU_DEP_1)
	v_cmp_gt_i32_e32 vcc_lo, v4, v26
	s_wait_alu 0xfffd
	v_dual_cndmask_b32 v4, v25, v24 :: v_dual_cndmask_b32 v25, v24, v25
	v_max_i32_e32 v26, v4, v25
	s_delay_alu instid0(VALU_DEP_1)
	v_cmpx_gt_i32_e64 s30, v26
	s_cbranch_execz .LBB8_14
; %bb.13:                               ;   in Loop: Header=BB8_10 Depth=3
	v_ashrrev_i32_e32 v5, 31, v25
	v_mul_lo_u32 v6, s11, v25
	v_mad_co_u64_u32 v[2:3], null, s10, v25, 0
	s_delay_alu instid0(VALU_DEP_3) | instskip(NEXT) | instid1(VALU_DEP_1)
	v_mul_lo_u32 v5, s10, v5
	v_add3_u32 v3, v3, v5, v6
	v_ashrrev_i32_e32 v5, 31, v4
	s_delay_alu instid0(VALU_DEP_2) | instskip(NEXT) | instid1(VALU_DEP_2)
	v_lshlrev_b64_e32 v[2:3], 3, v[2:3]
	v_lshlrev_b64_e32 v[4:5], 3, v[4:5]
	s_delay_alu instid0(VALU_DEP_2) | instskip(SKIP_1) | instid1(VALU_DEP_3)
	v_add_co_u32 v2, vcc_lo, s16, v2
	s_wait_alu 0xfffd
	v_add_co_ci_u32_e64 v3, null, s17, v3, vcc_lo
	s_delay_alu instid0(VALU_DEP_2) | instskip(SKIP_1) | instid1(VALU_DEP_2)
	v_add_co_u32 v2, vcc_lo, v2, v4
	s_wait_alu 0xfffd
	v_add_co_ci_u32_e64 v3, null, v3, v5, vcc_lo
	global_load_b64 v[2:3], v[2:3], off
.LBB8_14:                               ;   in Loop: Header=BB8_10 Depth=3
	s_or_b32 exec_lo, exec_lo, s33
	s_wait_loadcnt 0x0
	ds_store_b64 v12, v[2:3]
	s_wait_dscnt 0x0
	s_barrier_signal -1
	s_barrier_wait -1
	global_inv scope:SCOPE_SE
	s_and_saveexec_b32 s33, s0
	s_cbranch_execz .LBB8_9
; %bb.15:                               ;   in Loop: Header=BB8_10 Depth=3
	ds_load_2addr_b64 v[2:5], v10 offset1:32
	ds_load_b128 v[25:28], v9
	ds_load_b128 v[29:32], v9 offset:16
	s_wait_dscnt 0x1
	v_fma_f64 v[2:3], v[25:26], v[2:3], 0
	s_delay_alu instid0(VALU_DEP_1) | instskip(SKIP_3) | instid1(VALU_DEP_1)
	v_fma_f64 v[25:26], v[27:28], v[4:5], v[2:3]
	ds_load_2addr_b64 v[2:5], v10 offset0:64 offset1:96
	s_wait_dscnt 0x0
	v_fma_f64 v[2:3], v[29:30], v[2:3], v[25:26]
	v_fma_f64 v[33:34], v[31:32], v[4:5], v[2:3]
	ds_load_2addr_b64 v[2:5], v10 offset0:128 offset1:160
	ds_load_b128 v[25:28], v9 offset:32
	ds_load_b128 v[29:32], v9 offset:48
	s_wait_dscnt 0x1
	v_fma_f64 v[2:3], v[25:26], v[2:3], v[33:34]
	s_delay_alu instid0(VALU_DEP_1) | instskip(SKIP_3) | instid1(VALU_DEP_1)
	v_fma_f64 v[25:26], v[27:28], v[4:5], v[2:3]
	ds_load_2addr_b64 v[2:5], v10 offset0:192 offset1:224
	s_wait_dscnt 0x0
	v_fma_f64 v[2:3], v[29:30], v[2:3], v[25:26]
	v_fma_f64 v[33:34], v[31:32], v[4:5], v[2:3]
	ds_load_2addr_b64 v[2:5], v17 offset1:32
	ds_load_b128 v[25:28], v9 offset:64
	ds_load_b128 v[29:32], v9 offset:80
	s_wait_dscnt 0x1
	v_fma_f64 v[2:3], v[25:26], v[2:3], v[33:34]
	s_delay_alu instid0(VALU_DEP_1) | instskip(SKIP_3) | instid1(VALU_DEP_1)
	v_fma_f64 v[25:26], v[27:28], v[4:5], v[2:3]
	ds_load_2addr_b64 v[2:5], v17 offset0:64 offset1:96
	s_wait_dscnt 0x0
	v_fma_f64 v[2:3], v[29:30], v[2:3], v[25:26]
	v_fma_f64 v[33:34], v[31:32], v[4:5], v[2:3]
	ds_load_2addr_b64 v[2:5], v17 offset0:128 offset1:160
	ds_load_b128 v[25:28], v9 offset:96
	ds_load_b128 v[29:32], v9 offset:112
	s_wait_dscnt 0x1
	v_fma_f64 v[2:3], v[25:26], v[2:3], v[33:34]
	s_delay_alu instid0(VALU_DEP_1) | instskip(SKIP_3) | instid1(VALU_DEP_1)
	v_fma_f64 v[25:26], v[27:28], v[4:5], v[2:3]
	ds_load_2addr_b64 v[2:5], v17 offset0:192 offset1:224
	s_wait_dscnt 0x0
	v_fma_f64 v[2:3], v[29:30], v[2:3], v[25:26]
	v_fma_f64 v[33:34], v[31:32], v[4:5], v[2:3]
	ds_load_2addr_b64 v[2:5], v18 offset1:32
	ds_load_b128 v[25:28], v9 offset:128
	ds_load_b128 v[29:32], v9 offset:144
	s_wait_dscnt 0x1
	v_fma_f64 v[2:3], v[25:26], v[2:3], v[33:34]
	s_delay_alu instid0(VALU_DEP_1) | instskip(SKIP_3) | instid1(VALU_DEP_1)
	v_fma_f64 v[25:26], v[27:28], v[4:5], v[2:3]
	ds_load_2addr_b64 v[2:5], v18 offset0:64 offset1:96
	s_wait_dscnt 0x0
	v_fma_f64 v[2:3], v[29:30], v[2:3], v[25:26]
	v_fma_f64 v[33:34], v[31:32], v[4:5], v[2:3]
	ds_load_2addr_b64 v[2:5], v18 offset0:128 offset1:160
	ds_load_b128 v[25:28], v9 offset:160
	ds_load_b128 v[29:32], v9 offset:176
	s_wait_dscnt 0x1
	v_fma_f64 v[2:3], v[25:26], v[2:3], v[33:34]
	s_delay_alu instid0(VALU_DEP_1) | instskip(SKIP_3) | instid1(VALU_DEP_1)
	v_fma_f64 v[25:26], v[27:28], v[4:5], v[2:3]
	ds_load_2addr_b64 v[2:5], v18 offset0:192 offset1:224
	s_wait_dscnt 0x0
	v_fma_f64 v[2:3], v[29:30], v[2:3], v[25:26]
	v_fma_f64 v[33:34], v[31:32], v[4:5], v[2:3]
	ds_load_b128 v[2:5], v9 offset:192
	ds_load_2addr_b64 v[25:28], v19 offset1:32
	global_load_b64 v[35:36], v[0:1], off
	ds_load_b128 v[29:32], v9 offset:208
	s_wait_dscnt 0x1
	v_fma_f64 v[2:3], v[2:3], v[25:26], v[33:34]
	s_delay_alu instid0(VALU_DEP_1) | instskip(SKIP_3) | instid1(VALU_DEP_1)
	v_fma_f64 v[25:26], v[4:5], v[27:28], v[2:3]
	ds_load_2addr_b64 v[2:5], v19 offset0:64 offset1:96
	s_wait_dscnt 0x0
	v_fma_f64 v[2:3], v[29:30], v[2:3], v[25:26]
	v_fma_f64 v[33:34], v[31:32], v[4:5], v[2:3]
	ds_load_2addr_b64 v[2:5], v19 offset0:128 offset1:160
	ds_load_b128 v[25:28], v9 offset:224
	ds_load_b128 v[29:32], v9 offset:240
	s_wait_dscnt 0x1
	v_fma_f64 v[2:3], v[25:26], v[2:3], v[33:34]
	s_delay_alu instid0(VALU_DEP_1) | instskip(SKIP_3) | instid1(VALU_DEP_1)
	v_fma_f64 v[25:26], v[27:28], v[4:5], v[2:3]
	ds_load_2addr_b64 v[2:5], v19 offset0:192 offset1:224
	s_wait_dscnt 0x0
	v_fma_f64 v[2:3], v[29:30], v[2:3], v[25:26]
	v_fma_f64 v[2:3], v[31:32], v[4:5], v[2:3]
	s_wait_loadcnt 0x0
	s_delay_alu instid0(VALU_DEP_1)
	v_fma_f64 v[2:3], s[4:5], v[2:3], v[35:36]
	global_store_b64 v[0:1], v[2:3], off
	s_branch .LBB8_9
.LBB8_16:
	s_endpgm
	.section	.rodata,"a",@progbits
	.p2align	6, 0x0
	.amdhsa_kernel _ZL24rocblas_symm_hemm_kernelILb0ELb1ELi32EPKdS1_PdEvbiiT2_T3_lllS4_lllT4_llli
		.amdhsa_group_segment_fixed_size 16384
		.amdhsa_private_segment_fixed_size 0
		.amdhsa_kernarg_size 384
		.amdhsa_user_sgpr_count 2
		.amdhsa_user_sgpr_dispatch_ptr 0
		.amdhsa_user_sgpr_queue_ptr 0
		.amdhsa_user_sgpr_kernarg_segment_ptr 1
		.amdhsa_user_sgpr_dispatch_id 0
		.amdhsa_user_sgpr_private_segment_size 0
		.amdhsa_wavefront_size32 1
		.amdhsa_uses_dynamic_stack 0
		.amdhsa_enable_private_segment 0
		.amdhsa_system_sgpr_workgroup_id_x 1
		.amdhsa_system_sgpr_workgroup_id_y 1
		.amdhsa_system_sgpr_workgroup_id_z 1
		.amdhsa_system_sgpr_workgroup_info 0
		.amdhsa_system_vgpr_workitem_id 1
		.amdhsa_next_free_vgpr 37
		.amdhsa_next_free_sgpr 38
		.amdhsa_reserve_vcc 1
		.amdhsa_float_round_mode_32 0
		.amdhsa_float_round_mode_16_64 0
		.amdhsa_float_denorm_mode_32 3
		.amdhsa_float_denorm_mode_16_64 3
		.amdhsa_fp16_overflow 0
		.amdhsa_workgroup_processor_mode 1
		.amdhsa_memory_ordered 1
		.amdhsa_forward_progress 1
		.amdhsa_inst_pref_size 13
		.amdhsa_round_robin_scheduling 0
		.amdhsa_exception_fp_ieee_invalid_op 0
		.amdhsa_exception_fp_denorm_src 0
		.amdhsa_exception_fp_ieee_div_zero 0
		.amdhsa_exception_fp_ieee_overflow 0
		.amdhsa_exception_fp_ieee_underflow 0
		.amdhsa_exception_fp_ieee_inexact 0
		.amdhsa_exception_int_div_zero 0
	.end_amdhsa_kernel
	.section	.text._ZL24rocblas_symm_hemm_kernelILb0ELb1ELi32EPKdS1_PdEvbiiT2_T3_lllS4_lllT4_llli,"axG",@progbits,_ZL24rocblas_symm_hemm_kernelILb0ELb1ELi32EPKdS1_PdEvbiiT2_T3_lllS4_lllT4_llli,comdat
.Lfunc_end8:
	.size	_ZL24rocblas_symm_hemm_kernelILb0ELb1ELi32EPKdS1_PdEvbiiT2_T3_lllS4_lllT4_llli, .Lfunc_end8-_ZL24rocblas_symm_hemm_kernelILb0ELb1ELi32EPKdS1_PdEvbiiT2_T3_lllS4_lllT4_llli
                                        ; -- End function
	.set _ZL24rocblas_symm_hemm_kernelILb0ELb1ELi32EPKdS1_PdEvbiiT2_T3_lllS4_lllT4_llli.num_vgpr, 37
	.set _ZL24rocblas_symm_hemm_kernelILb0ELb1ELi32EPKdS1_PdEvbiiT2_T3_lllS4_lllT4_llli.num_agpr, 0
	.set _ZL24rocblas_symm_hemm_kernelILb0ELb1ELi32EPKdS1_PdEvbiiT2_T3_lllS4_lllT4_llli.numbered_sgpr, 38
	.set _ZL24rocblas_symm_hemm_kernelILb0ELb1ELi32EPKdS1_PdEvbiiT2_T3_lllS4_lllT4_llli.num_named_barrier, 0
	.set _ZL24rocblas_symm_hemm_kernelILb0ELb1ELi32EPKdS1_PdEvbiiT2_T3_lllS4_lllT4_llli.private_seg_size, 0
	.set _ZL24rocblas_symm_hemm_kernelILb0ELb1ELi32EPKdS1_PdEvbiiT2_T3_lllS4_lllT4_llli.uses_vcc, 1
	.set _ZL24rocblas_symm_hemm_kernelILb0ELb1ELi32EPKdS1_PdEvbiiT2_T3_lllS4_lllT4_llli.uses_flat_scratch, 0
	.set _ZL24rocblas_symm_hemm_kernelILb0ELb1ELi32EPKdS1_PdEvbiiT2_T3_lllS4_lllT4_llli.has_dyn_sized_stack, 0
	.set _ZL24rocblas_symm_hemm_kernelILb0ELb1ELi32EPKdS1_PdEvbiiT2_T3_lllS4_lllT4_llli.has_recursion, 0
	.set _ZL24rocblas_symm_hemm_kernelILb0ELb1ELi32EPKdS1_PdEvbiiT2_T3_lllS4_lllT4_llli.has_indirect_call, 0
	.section	.AMDGPU.csdata,"",@progbits
; Kernel info:
; codeLenInByte = 1660
; TotalNumSgprs: 40
; NumVgprs: 37
; ScratchSize: 0
; MemoryBound: 0
; FloatMode: 240
; IeeeMode: 1
; LDSByteSize: 16384 bytes/workgroup (compile time only)
; SGPRBlocks: 0
; VGPRBlocks: 4
; NumSGPRsForWavesPerEU: 40
; NumVGPRsForWavesPerEU: 37
; Occupancy: 16
; WaveLimiterHint : 1
; COMPUTE_PGM_RSRC2:SCRATCH_EN: 0
; COMPUTE_PGM_RSRC2:USER_SGPR: 2
; COMPUTE_PGM_RSRC2:TRAP_HANDLER: 0
; COMPUTE_PGM_RSRC2:TGID_X_EN: 1
; COMPUTE_PGM_RSRC2:TGID_Y_EN: 1
; COMPUTE_PGM_RSRC2:TGID_Z_EN: 1
; COMPUTE_PGM_RSRC2:TIDIG_COMP_CNT: 1
	.section	.text._ZL25rocblas_symm_scale_kernelILi128ELi8EdPdEviiT1_T2_llli,"axG",@progbits,_ZL25rocblas_symm_scale_kernelILi128ELi8EdPdEviiT1_T2_llli,comdat
	.globl	_ZL25rocblas_symm_scale_kernelILi128ELi8EdPdEviiT1_T2_llli ; -- Begin function _ZL25rocblas_symm_scale_kernelILi128ELi8EdPdEviiT1_T2_llli
	.p2align	8
	.type	_ZL25rocblas_symm_scale_kernelILi128ELi8EdPdEviiT1_T2_llli,@function
_ZL25rocblas_symm_scale_kernelILi128ELi8EdPdEviiT1_T2_llli: ; @_ZL25rocblas_symm_scale_kernelILi128ELi8EdPdEviiT1_T2_llli
; %bb.0:
	s_load_b256 s[4:11], s[0:1], 0x8
	s_wait_kmcnt 0x0
	v_cmp_eq_f64_e64 s2, s[4:5], 1.0
	s_and_b32 vcc_lo, exec_lo, s2
	s_cbranch_vccnz .LBB9_10
; %bb.1:
	s_load_b32 s16, s[0:1], 0x30
	s_lshr_b32 s17, ttmp7, 16
	s_wait_kmcnt 0x0
	s_cmp_ge_u32 s17, s16
	s_cbranch_scc1 .LBB9_10
; %bb.2:
	v_bfe_u32 v1, v0, 10, 10
	s_and_b32 s2, ttmp7, 0xffff
	v_cmp_neq_f64_e64 s18, s[4:5], 0
	s_clause 0x1
	s_load_b64 s[12:13], s[0:1], 0x0
	s_load_b64 s[14:15], s[0:1], 0x28
	v_lshl_add_u32 v1, s2, 3, v1
	v_and_b32_e32 v0, 0x3ff, v0
	s_add_nc_u64 s[2:3], s[0:1], 56
	s_lshl_b64 s[0:1], s[8:9], 3
	s_delay_alu instid0(VALU_DEP_2) | instskip(NEXT) | instid1(VALU_DEP_1)
	v_mad_co_u64_u32 v[3:4], null, s10, v1, 0
	v_mov_b32_e32 v2, v4
	s_wait_kmcnt 0x0
	s_ashr_i32 s9, s13, 31
	s_delay_alu instid0(VALU_DEP_1)
	v_mad_co_u64_u32 v[4:5], null, s11, v1, v[2:3]
	v_mov_b32_e32 v2, 0
	v_lshl_add_u32 v5, ttmp9, 7, v0
	s_mov_b32 s8, s13
	s_lshl_b64 s[10:11], s[10:11], 3
	s_mov_b32 s13, 0
	v_mov_b32_e32 v6, v2
	s_delay_alu instid0(VALU_DEP_4) | instskip(SKIP_1) | instid1(VALU_DEP_3)
	v_lshlrev_b64_e32 v[3:4], 3, v[3:4]
	v_cmp_gt_i64_e32 vcc_lo, s[8:9], v[1:2]
	v_lshlrev_b64_e32 v[6:7], 3, v[5:6]
	s_delay_alu instid0(VALU_DEP_3) | instskip(SKIP_1) | instid1(VALU_DEP_4)
	v_add_co_u32 v0, s0, v3, s0
	s_wait_alu 0xf1ff
	v_add_co_ci_u32_e64 v3, null, s1, v4, s0
	v_cmp_gt_u32_e64 s0, s12, v5
	s_delay_alu instid0(VALU_DEP_3) | instskip(SKIP_1) | instid1(VALU_DEP_3)
	v_add_co_u32 v0, s1, v0, v6
	s_wait_alu 0xf1ff
	v_add_co_ci_u32_e64 v4, null, v3, v7, s1
	s_and_b32 s1, s0, vcc_lo
	v_add_co_u32 v3, vcc_lo, s6, v0
	s_delay_alu instid0(VALU_DEP_1)
	v_add_co_ci_u32_e64 v4, null, s7, v4, vcc_lo
	s_lshl_b64 s[6:7], s[14:15], 3
	s_branch .LBB9_4
.LBB9_3:                                ;   in Loop: Header=BB9_4 Depth=1
	s_or_b32 exec_lo, exec_lo, s19
	s_add_co_i32 s17, s17, 0x10000
	s_wait_alu 0xfffe
	s_cmp_lt_u32 s17, s16
	s_cbranch_scc0 .LBB9_10
.LBB9_4:                                ; =>This Loop Header: Depth=1
                                        ;     Child Loop BB9_8 Depth 2
	s_wait_alu 0xfffe
	s_and_saveexec_b32 s19, s1
	s_cbranch_execz .LBB9_3
; %bb.5:                                ;   in Loop: Header=BB9_4 Depth=1
	s_load_b32 s0, s[2:3], 0x4
	v_mad_co_u64_u32 v[5:6], null, s6, s17, v[3:4]
	s_mov_b32 s20, 0
	v_mov_b32_e32 v0, v6
	s_delay_alu instid0(VALU_DEP_1)
	v_mad_co_u64_u32 v[6:7], null, s7, s17, v[0:1]
	v_dual_mov_b32 v8, v2 :: v_dual_mov_b32 v7, v1
	s_wait_kmcnt 0x0
	s_lshl_b32 s12, s0, 3
	s_wait_alu 0xfffe
	s_mul_u64 s[14:15], s[10:11], s[12:13]
	s_branch .LBB9_8
.LBB9_6:                                ;   in Loop: Header=BB9_8 Depth=2
	global_load_b64 v[9:10], v[5:6], off
	s_wait_loadcnt 0x0
	v_mul_f64_e32 v[9:10], s[4:5], v[9:10]
.LBB9_7:                                ;   in Loop: Header=BB9_8 Depth=2
	v_add_co_u32 v7, vcc_lo, v7, s12
	s_wait_alu 0xfffd
	v_add_co_ci_u32_e64 v8, null, 0, v8, vcc_lo
	global_store_b64 v[5:6], v[9:10], off
	v_add_co_u32 v5, s0, v5, s14
	v_cmp_le_i64_e32 vcc_lo, s[8:9], v[7:8]
	s_wait_alu 0xf1ff
	v_add_co_ci_u32_e64 v6, null, s15, v6, s0
	s_or_b32 s20, vcc_lo, s20
	s_delay_alu instid0(SALU_CYCLE_1)
	s_and_not1_b32 exec_lo, exec_lo, s20
	s_cbranch_execz .LBB9_3
.LBB9_8:                                ;   Parent Loop BB9_4 Depth=1
                                        ; =>  This Inner Loop Header: Depth=2
	s_and_not1_b32 vcc_lo, exec_lo, s18
	s_wait_alu 0xfffe
	s_cbranch_vccz .LBB9_6
; %bb.9:                                ;   in Loop: Header=BB9_8 Depth=2
	v_mov_b32_e32 v9, 0
	v_mov_b32_e32 v10, 0
	s_branch .LBB9_7
.LBB9_10:
	s_endpgm
	.section	.rodata,"a",@progbits
	.p2align	6, 0x0
	.amdhsa_kernel _ZL25rocblas_symm_scale_kernelILi128ELi8EdPdEviiT1_T2_llli
		.amdhsa_group_segment_fixed_size 0
		.amdhsa_private_segment_fixed_size 0
		.amdhsa_kernarg_size 312
		.amdhsa_user_sgpr_count 2
		.amdhsa_user_sgpr_dispatch_ptr 0
		.amdhsa_user_sgpr_queue_ptr 0
		.amdhsa_user_sgpr_kernarg_segment_ptr 1
		.amdhsa_user_sgpr_dispatch_id 0
		.amdhsa_user_sgpr_private_segment_size 0
		.amdhsa_wavefront_size32 1
		.amdhsa_uses_dynamic_stack 0
		.amdhsa_enable_private_segment 0
		.amdhsa_system_sgpr_workgroup_id_x 1
		.amdhsa_system_sgpr_workgroup_id_y 1
		.amdhsa_system_sgpr_workgroup_id_z 1
		.amdhsa_system_sgpr_workgroup_info 0
		.amdhsa_system_vgpr_workitem_id 1
		.amdhsa_next_free_vgpr 11
		.amdhsa_next_free_sgpr 21
		.amdhsa_reserve_vcc 1
		.amdhsa_float_round_mode_32 0
		.amdhsa_float_round_mode_16_64 0
		.amdhsa_float_denorm_mode_32 3
		.amdhsa_float_denorm_mode_16_64 3
		.amdhsa_fp16_overflow 0
		.amdhsa_workgroup_processor_mode 1
		.amdhsa_memory_ordered 1
		.amdhsa_forward_progress 1
		.amdhsa_inst_pref_size 4
		.amdhsa_round_robin_scheduling 0
		.amdhsa_exception_fp_ieee_invalid_op 0
		.amdhsa_exception_fp_denorm_src 0
		.amdhsa_exception_fp_ieee_div_zero 0
		.amdhsa_exception_fp_ieee_overflow 0
		.amdhsa_exception_fp_ieee_underflow 0
		.amdhsa_exception_fp_ieee_inexact 0
		.amdhsa_exception_int_div_zero 0
	.end_amdhsa_kernel
	.section	.text._ZL25rocblas_symm_scale_kernelILi128ELi8EdPdEviiT1_T2_llli,"axG",@progbits,_ZL25rocblas_symm_scale_kernelILi128ELi8EdPdEviiT1_T2_llli,comdat
.Lfunc_end9:
	.size	_ZL25rocblas_symm_scale_kernelILi128ELi8EdPdEviiT1_T2_llli, .Lfunc_end9-_ZL25rocblas_symm_scale_kernelILi128ELi8EdPdEviiT1_T2_llli
                                        ; -- End function
	.set _ZL25rocblas_symm_scale_kernelILi128ELi8EdPdEviiT1_T2_llli.num_vgpr, 11
	.set _ZL25rocblas_symm_scale_kernelILi128ELi8EdPdEviiT1_T2_llli.num_agpr, 0
	.set _ZL25rocblas_symm_scale_kernelILi128ELi8EdPdEviiT1_T2_llli.numbered_sgpr, 21
	.set _ZL25rocblas_symm_scale_kernelILi128ELi8EdPdEviiT1_T2_llli.num_named_barrier, 0
	.set _ZL25rocblas_symm_scale_kernelILi128ELi8EdPdEviiT1_T2_llli.private_seg_size, 0
	.set _ZL25rocblas_symm_scale_kernelILi128ELi8EdPdEviiT1_T2_llli.uses_vcc, 1
	.set _ZL25rocblas_symm_scale_kernelILi128ELi8EdPdEviiT1_T2_llli.uses_flat_scratch, 0
	.set _ZL25rocblas_symm_scale_kernelILi128ELi8EdPdEviiT1_T2_llli.has_dyn_sized_stack, 0
	.set _ZL25rocblas_symm_scale_kernelILi128ELi8EdPdEviiT1_T2_llli.has_recursion, 0
	.set _ZL25rocblas_symm_scale_kernelILi128ELi8EdPdEviiT1_T2_llli.has_indirect_call, 0
	.section	.AMDGPU.csdata,"",@progbits
; Kernel info:
; codeLenInByte = 508
; TotalNumSgprs: 23
; NumVgprs: 11
; ScratchSize: 0
; MemoryBound: 1
; FloatMode: 240
; IeeeMode: 1
; LDSByteSize: 0 bytes/workgroup (compile time only)
; SGPRBlocks: 0
; VGPRBlocks: 1
; NumSGPRsForWavesPerEU: 23
; NumVGPRsForWavesPerEU: 11
; Occupancy: 16
; WaveLimiterHint : 0
; COMPUTE_PGM_RSRC2:SCRATCH_EN: 0
; COMPUTE_PGM_RSRC2:USER_SGPR: 2
; COMPUTE_PGM_RSRC2:TRAP_HANDLER: 0
; COMPUTE_PGM_RSRC2:TGID_X_EN: 1
; COMPUTE_PGM_RSRC2:TGID_Y_EN: 1
; COMPUTE_PGM_RSRC2:TGID_Z_EN: 1
; COMPUTE_PGM_RSRC2:TIDIG_COMP_CNT: 1
	.section	.text._ZL24rocblas_symm_hemm_kernelILb0ELb0ELi32EdPKdPdEvbiiT2_T3_lllS4_lllT4_llli,"axG",@progbits,_ZL24rocblas_symm_hemm_kernelILb0ELb0ELi32EdPKdPdEvbiiT2_T3_lllS4_lllT4_llli,comdat
	.globl	_ZL24rocblas_symm_hemm_kernelILb0ELb0ELi32EdPKdPdEvbiiT2_T3_lllS4_lllT4_llli ; -- Begin function _ZL24rocblas_symm_hemm_kernelILb0ELb0ELi32EdPKdPdEvbiiT2_T3_lllS4_lllT4_llli
	.p2align	8
	.type	_ZL24rocblas_symm_hemm_kernelILb0ELb0ELi32EdPKdPdEvbiiT2_T3_lllS4_lllT4_llli,@function
_ZL24rocblas_symm_hemm_kernelILb0ELb0ELi32EdPKdPdEvbiiT2_T3_lllS4_lllT4_llli: ; @_ZL24rocblas_symm_hemm_kernelILb0ELb0ELi32EdPKdPdEvbiiT2_T3_lllS4_lllT4_llli
; %bb.0:
	s_load_b512 s[4:19], s[0:1], 0x10
	s_wait_kmcnt 0x0
	v_cmp_eq_f64_e64 s2, s[4:5], 0
	s_and_b32 vcc_lo, exec_lo, s2
	s_cbranch_vccnz .LBB10_16
; %bb.1:
	s_load_b32 s31, s[0:1], 0x78
	s_lshr_b32 s34, ttmp7, 16
	s_wait_kmcnt 0x0
	s_cmp_ge_u32 s34, s31
	s_cbranch_scc1 .LBB10_16
; %bb.2:
	s_clause 0x1
	s_load_b96 s[28:30], s[0:1], 0x0
	s_load_b256 s[20:27], s[0:1], 0x50
	v_bfe_u32 v8, v0, 10, 10
	v_and_b32_e32 v9, 0x3ff, v0
	s_lshl_b64 s[2:3], s[8:9], 3
	s_load_b64 s[8:9], s[0:1], 0x70
	s_lshl_b64 s[16:17], s[16:17], 3
	v_lshlrev_b32_e32 v1, 3, v8
	v_lshlrev_b32_e32 v10, 8, v9
	v_lshl_add_u32 v0, ttmp9, 5, v9
	s_add_nc_u64 s[6:7], s[6:7], s[2:3]
	s_add_nc_u64 s[14:15], s[14:15], s[16:17]
	v_or_b32_e32 v11, 0x2000, v1
	v_add_nc_u32_e32 v12, v10, v1
	v_ashrrev_i32_e32 v1, 31, v0
	s_mov_b32 s35, 0
	s_add_nc_u64 s[16:17], s[0:1], 0x80
	v_add_nc_u32_e32 v13, v11, v10
	v_add_nc_u32_e32 v16, 0x800, v11
	v_lshlrev_b64_e32 v[1:2], 3, v[0:1]
	s_wait_kmcnt 0x0
	s_bitcmp1_b32 s28, 0
	v_cmp_gt_i32_e64 s3, s29, v0
	s_cselect_b32 s2, -1, 0
	s_add_co_i32 s28, s30, -1
	s_lshl_b64 s[24:25], s[24:25], 3
	s_wait_alu 0xfffe
	s_ashr_i32 s33, s28, 31
	s_add_nc_u64 s[22:23], s[22:23], s[24:25]
	s_lshr_b32 s33, s33, 27
	v_add_co_u32 v14, vcc_lo, s22, v1
	s_add_co_i32 s33, s28, s33
	s_and_b32 s28, ttmp7, 0xffff
	s_ashr_i32 s33, s33, 5
	v_add_co_ci_u32_e64 v15, null, s23, v2, vcc_lo
	s_wait_alu 0xfffe
	s_cmp_le_i32 s28, s33
	v_add_nc_u32_e32 v17, 0x1000, v11
	v_add_nc_u32_e32 v18, 0x1800, v11
	s_cselect_b32 s36, -1, 0
	s_cmp_gt_i32 s29, 0
	s_cselect_b32 s37, -1, 0
	s_branch .LBB10_4
.LBB10_3:                               ;   in Loop: Header=BB10_4 Depth=1
	s_add_co_i32 s34, s34, 0x10000
	s_delay_alu instid0(SALU_CYCLE_1)
	s_cmp_lt_u32 s34, s31
	s_cbranch_scc0 .LBB10_16
.LBB10_4:                               ; =>This Loop Header: Depth=1
                                        ;     Child Loop BB10_7 Depth 2
                                        ;       Child Loop BB10_10 Depth 3
	s_and_not1_b32 vcc_lo, exec_lo, s36
	s_wait_alu 0xfffe
	s_cbranch_vccnz .LBB10_3
; %bb.5:                                ;   in Loop: Header=BB10_4 Depth=1
	s_load_b32 s1, s[16:17], 0x4
	s_mul_u64 s[38:39], s[8:9], s[34:35]
	s_mul_u64 s[22:23], s[12:13], s[34:35]
	s_wait_alu 0xfffe
	s_lshl_b64 s[38:39], s[38:39], 3
	s_mul_u64 s[24:25], s[20:21], s[34:35]
	s_wait_alu 0xfffe
	v_add_co_u32 v19, vcc_lo, v14, s38
	s_wait_alu 0xfffd
	v_add_co_ci_u32_e64 v20, null, s39, v15, vcc_lo
	s_lshl_b64 s[22:23], s[22:23], 3
	s_lshl_b64 s[24:25], s[24:25], 3
	s_wait_alu 0xfffe
	s_add_nc_u64 s[22:23], s[6:7], s[22:23]
	s_add_nc_u64 s[24:25], s[14:15], s[24:25]
	s_mov_b32 s38, s28
	s_branch .LBB10_7
.LBB10_6:                               ;   in Loop: Header=BB10_7 Depth=2
	s_wait_kmcnt 0x0
	s_add_co_i32 s38, s38, s1
	s_wait_alu 0xfffe
	s_cmp_gt_i32 s38, s33
	s_cbranch_scc1 .LBB10_3
.LBB10_7:                               ;   Parent Loop BB10_4 Depth=1
                                        ; =>  This Loop Header: Depth=2
                                        ;       Child Loop BB10_10 Depth 3
	s_and_not1_b32 vcc_lo, exec_lo, s37
	s_wait_alu 0xfffe
	s_cbranch_vccnz .LBB10_6
; %bb.8:                                ;   in Loop: Header=BB10_7 Depth=2
	v_lshl_add_u32 v5, s38, 5, v8
	s_mov_b32 s40, 0
	s_delay_alu instid0(VALU_DEP_1) | instskip(SKIP_3) | instid1(VALU_DEP_4)
	v_ashrrev_i32_e32 v6, 31, v5
	v_mul_lo_u32 v7, s19, v5
	v_mad_co_u64_u32 v[1:2], null, s18, v5, 0
	v_mul_lo_u32 v22, s27, v5
	v_mul_lo_u32 v21, s18, v6
	v_mad_co_u64_u32 v[3:4], null, s26, v5, 0
	v_mul_lo_u32 v6, s26, v6
	v_cmp_gt_i32_e32 vcc_lo, s30, v5
	s_delay_alu instid0(VALU_DEP_4) | instskip(SKIP_1) | instid1(VALU_DEP_3)
	v_add3_u32 v2, v2, v21, v7
	s_and_b32 s39, s3, vcc_lo
	v_add3_u32 v4, v4, v6, v22
	s_delay_alu instid0(VALU_DEP_2) | instskip(NEXT) | instid1(VALU_DEP_2)
	v_lshlrev_b64_e32 v[1:2], 3, v[1:2]
	v_lshlrev_b64_e32 v[3:4], 3, v[3:4]
	s_delay_alu instid0(VALU_DEP_2) | instskip(SKIP_1) | instid1(VALU_DEP_3)
	v_add_co_u32 v21, s0, s24, v1
	s_wait_alu 0xf1ff
	v_add_co_ci_u32_e64 v22, null, s25, v2, s0
	s_delay_alu instid0(VALU_DEP_3)
	v_add_co_u32 v1, s0, v19, v3
	s_wait_alu 0xf1ff
	v_add_co_ci_u32_e64 v2, null, v20, v4, s0
	s_branch .LBB10_10
.LBB10_9:                               ;   in Loop: Header=BB10_10 Depth=3
	s_wait_alu 0xfffe
	s_or_b32 exec_lo, exec_lo, s0
	s_add_co_i32 s40, s40, 32
	s_wait_loadcnt 0x0
	s_wait_storecnt 0x0
	s_wait_alu 0xfffe
	s_cmp_ge_i32 s40, s29
	s_barrier_signal -1
	s_barrier_wait -1
	global_inv scope:SCOPE_SE
	s_cbranch_scc1 .LBB10_6
.LBB10_10:                              ;   Parent Loop BB10_4 Depth=1
                                        ;     Parent Loop BB10_7 Depth=2
                                        ; =>    This Inner Loop Header: Depth=3
	s_wait_alu 0xfffe
	v_dual_mov_b32 v6, 0 :: v_dual_add_nc_u32 v3, s40, v8
	s_mov_b32 s41, exec_lo
	v_mov_b32_e32 v7, 0
	s_delay_alu instid0(VALU_DEP_2) | instskip(SKIP_1) | instid1(VALU_DEP_1)
	v_cndmask_b32_e64 v4, v3, v0, s2
	v_cndmask_b32_e64 v5, v0, v3, s2
	v_cmp_gt_i32_e64 s0, v4, v5
	s_wait_alu 0xf1ff
	s_delay_alu instid0(VALU_DEP_1) | instskip(SKIP_3) | instid1(VALU_DEP_3)
	v_cndmask_b32_e64 v5, v0, v3, s0
	v_cndmask_b32_e64 v23, v3, v0, s0
	v_mov_b32_e32 v3, 0
	v_mov_b32_e32 v4, 0
	v_max_i32_e32 v24, v5, v23
	s_delay_alu instid0(VALU_DEP_1)
	v_cmpx_gt_i32_e64 s29, v24
	s_cbranch_execz .LBB10_12
; %bb.11:                               ;   in Loop: Header=BB10_10 Depth=3
	v_ashrrev_i32_e32 v6, 31, v23
	v_mul_lo_u32 v7, s11, v23
	v_mad_co_u64_u32 v[23:24], null, s10, v23, 0
	s_delay_alu instid0(VALU_DEP_3) | instskip(NEXT) | instid1(VALU_DEP_1)
	v_mul_lo_u32 v6, s10, v6
	v_add3_u32 v24, v24, v6, v7
	v_ashrrev_i32_e32 v6, 31, v5
	s_delay_alu instid0(VALU_DEP_2) | instskip(NEXT) | instid1(VALU_DEP_2)
	v_lshlrev_b64_e32 v[23:24], 3, v[23:24]
	v_lshlrev_b64_e32 v[5:6], 3, v[5:6]
	s_delay_alu instid0(VALU_DEP_2) | instskip(SKIP_1) | instid1(VALU_DEP_3)
	v_add_co_u32 v7, s0, s22, v23
	s_wait_alu 0xf1ff
	v_add_co_ci_u32_e64 v23, null, s23, v24, s0
	s_delay_alu instid0(VALU_DEP_2) | instskip(SKIP_1) | instid1(VALU_DEP_2)
	v_add_co_u32 v5, s0, v7, v5
	s_wait_alu 0xf1ff
	v_add_co_ci_u32_e64 v6, null, v23, v6, s0
	global_load_b64 v[6:7], v[5:6], off
.LBB10_12:                              ;   in Loop: Header=BB10_10 Depth=3
	s_wait_alu 0xfffe
	s_or_b32 exec_lo, exec_lo, s41
	v_add_nc_u32_e32 v5, s40, v9
	s_wait_loadcnt 0x0
	ds_store_b64 v12, v[6:7]
	v_cmp_gt_i32_e64 s0, s29, v5
	s_and_b32 s0, s0, vcc_lo
	s_wait_alu 0xfffe
	s_and_saveexec_b32 s41, s0
	s_cbranch_execz .LBB10_14
; %bb.13:                               ;   in Loop: Header=BB10_10 Depth=3
	v_ashrrev_i32_e32 v6, 31, v5
	s_delay_alu instid0(VALU_DEP_1) | instskip(NEXT) | instid1(VALU_DEP_1)
	v_lshlrev_b64_e32 v[3:4], 3, v[5:6]
	v_add_co_u32 v3, s0, v21, v3
	s_wait_alu 0xf1ff
	s_delay_alu instid0(VALU_DEP_2)
	v_add_co_ci_u32_e64 v4, null, v22, v4, s0
	global_load_b64 v[3:4], v[3:4], off
.LBB10_14:                              ;   in Loop: Header=BB10_10 Depth=3
	s_wait_alu 0xfffe
	s_or_b32 exec_lo, exec_lo, s41
	s_wait_loadcnt 0x0
	ds_store_b64 v13, v[3:4]
	s_wait_dscnt 0x0
	s_barrier_signal -1
	s_barrier_wait -1
	global_inv scope:SCOPE_SE
	s_and_saveexec_b32 s0, s39
	s_cbranch_execz .LBB10_9
; %bb.15:                               ;   in Loop: Header=BB10_10 Depth=3
	ds_load_2addr_b64 v[3:6], v11 offset1:32
	ds_load_b128 v[23:26], v10
	ds_load_b128 v[27:30], v10 offset:16
	s_wait_dscnt 0x1
	v_fma_f64 v[3:4], v[23:24], v[3:4], 0
	s_delay_alu instid0(VALU_DEP_1) | instskip(SKIP_3) | instid1(VALU_DEP_1)
	v_fma_f64 v[23:24], v[25:26], v[5:6], v[3:4]
	ds_load_2addr_b64 v[3:6], v11 offset0:64 offset1:96
	s_wait_dscnt 0x0
	v_fma_f64 v[3:4], v[27:28], v[3:4], v[23:24]
	v_fma_f64 v[31:32], v[29:30], v[5:6], v[3:4]
	ds_load_2addr_b64 v[3:6], v11 offset0:128 offset1:160
	ds_load_b128 v[23:26], v10 offset:32
	ds_load_b128 v[27:30], v10 offset:48
	s_wait_dscnt 0x1
	v_fma_f64 v[3:4], v[23:24], v[3:4], v[31:32]
	s_delay_alu instid0(VALU_DEP_1) | instskip(SKIP_3) | instid1(VALU_DEP_1)
	v_fma_f64 v[23:24], v[25:26], v[5:6], v[3:4]
	ds_load_2addr_b64 v[3:6], v11 offset0:192 offset1:224
	s_wait_dscnt 0x0
	v_fma_f64 v[3:4], v[27:28], v[3:4], v[23:24]
	v_fma_f64 v[31:32], v[29:30], v[5:6], v[3:4]
	ds_load_2addr_b64 v[3:6], v16 offset1:32
	ds_load_b128 v[23:26], v10 offset:64
	ds_load_b128 v[27:30], v10 offset:80
	s_wait_dscnt 0x1
	v_fma_f64 v[3:4], v[23:24], v[3:4], v[31:32]
	s_delay_alu instid0(VALU_DEP_1) | instskip(SKIP_3) | instid1(VALU_DEP_1)
	v_fma_f64 v[23:24], v[25:26], v[5:6], v[3:4]
	ds_load_2addr_b64 v[3:6], v16 offset0:64 offset1:96
	s_wait_dscnt 0x0
	v_fma_f64 v[3:4], v[27:28], v[3:4], v[23:24]
	v_fma_f64 v[31:32], v[29:30], v[5:6], v[3:4]
	ds_load_2addr_b64 v[3:6], v16 offset0:128 offset1:160
	ds_load_b128 v[23:26], v10 offset:96
	ds_load_b128 v[27:30], v10 offset:112
	s_wait_dscnt 0x1
	v_fma_f64 v[3:4], v[23:24], v[3:4], v[31:32]
	s_delay_alu instid0(VALU_DEP_1) | instskip(SKIP_3) | instid1(VALU_DEP_1)
	v_fma_f64 v[23:24], v[25:26], v[5:6], v[3:4]
	ds_load_2addr_b64 v[3:6], v16 offset0:192 offset1:224
	s_wait_dscnt 0x0
	v_fma_f64 v[3:4], v[27:28], v[3:4], v[23:24]
	v_fma_f64 v[31:32], v[29:30], v[5:6], v[3:4]
	ds_load_2addr_b64 v[3:6], v17 offset1:32
	ds_load_b128 v[23:26], v10 offset:128
	ds_load_b128 v[27:30], v10 offset:144
	s_wait_dscnt 0x1
	v_fma_f64 v[3:4], v[23:24], v[3:4], v[31:32]
	s_delay_alu instid0(VALU_DEP_1) | instskip(SKIP_3) | instid1(VALU_DEP_1)
	v_fma_f64 v[23:24], v[25:26], v[5:6], v[3:4]
	ds_load_2addr_b64 v[3:6], v17 offset0:64 offset1:96
	s_wait_dscnt 0x0
	v_fma_f64 v[3:4], v[27:28], v[3:4], v[23:24]
	v_fma_f64 v[31:32], v[29:30], v[5:6], v[3:4]
	ds_load_2addr_b64 v[3:6], v17 offset0:128 offset1:160
	ds_load_b128 v[23:26], v10 offset:160
	ds_load_b128 v[27:30], v10 offset:176
	s_wait_dscnt 0x1
	v_fma_f64 v[3:4], v[23:24], v[3:4], v[31:32]
	s_delay_alu instid0(VALU_DEP_1) | instskip(SKIP_3) | instid1(VALU_DEP_1)
	v_fma_f64 v[23:24], v[25:26], v[5:6], v[3:4]
	ds_load_2addr_b64 v[3:6], v17 offset0:192 offset1:224
	s_wait_dscnt 0x0
	v_fma_f64 v[3:4], v[27:28], v[3:4], v[23:24]
	v_fma_f64 v[31:32], v[29:30], v[5:6], v[3:4]
	ds_load_b128 v[3:6], v10 offset:192
	ds_load_2addr_b64 v[23:26], v18 offset1:32
	global_load_b64 v[33:34], v[1:2], off
	ds_load_b128 v[27:30], v10 offset:208
	s_wait_dscnt 0x1
	v_fma_f64 v[3:4], v[3:4], v[23:24], v[31:32]
	s_delay_alu instid0(VALU_DEP_1) | instskip(SKIP_3) | instid1(VALU_DEP_1)
	v_fma_f64 v[23:24], v[5:6], v[25:26], v[3:4]
	ds_load_2addr_b64 v[3:6], v18 offset0:64 offset1:96
	s_wait_dscnt 0x0
	v_fma_f64 v[3:4], v[27:28], v[3:4], v[23:24]
	v_fma_f64 v[31:32], v[29:30], v[5:6], v[3:4]
	ds_load_2addr_b64 v[3:6], v18 offset0:128 offset1:160
	ds_load_b128 v[23:26], v10 offset:224
	ds_load_b128 v[27:30], v10 offset:240
	s_wait_dscnt 0x1
	v_fma_f64 v[3:4], v[23:24], v[3:4], v[31:32]
	s_delay_alu instid0(VALU_DEP_1) | instskip(SKIP_3) | instid1(VALU_DEP_1)
	v_fma_f64 v[23:24], v[25:26], v[5:6], v[3:4]
	ds_load_2addr_b64 v[3:6], v18 offset0:192 offset1:224
	s_wait_dscnt 0x0
	v_fma_f64 v[3:4], v[27:28], v[3:4], v[23:24]
	v_fma_f64 v[3:4], v[29:30], v[5:6], v[3:4]
	s_wait_loadcnt 0x0
	s_delay_alu instid0(VALU_DEP_1)
	v_fma_f64 v[3:4], s[4:5], v[3:4], v[33:34]
	global_store_b64 v[1:2], v[3:4], off
	s_branch .LBB10_9
.LBB10_16:
	s_endpgm
	.section	.rodata,"a",@progbits
	.p2align	6, 0x0
	.amdhsa_kernel _ZL24rocblas_symm_hemm_kernelILb0ELb0ELi32EdPKdPdEvbiiT2_T3_lllS4_lllT4_llli
		.amdhsa_group_segment_fixed_size 16384
		.amdhsa_private_segment_fixed_size 0
		.amdhsa_kernarg_size 384
		.amdhsa_user_sgpr_count 2
		.amdhsa_user_sgpr_dispatch_ptr 0
		.amdhsa_user_sgpr_queue_ptr 0
		.amdhsa_user_sgpr_kernarg_segment_ptr 1
		.amdhsa_user_sgpr_dispatch_id 0
		.amdhsa_user_sgpr_private_segment_size 0
		.amdhsa_wavefront_size32 1
		.amdhsa_uses_dynamic_stack 0
		.amdhsa_enable_private_segment 0
		.amdhsa_system_sgpr_workgroup_id_x 1
		.amdhsa_system_sgpr_workgroup_id_y 1
		.amdhsa_system_sgpr_workgroup_id_z 1
		.amdhsa_system_sgpr_workgroup_info 0
		.amdhsa_system_vgpr_workitem_id 1
		.amdhsa_next_free_vgpr 35
		.amdhsa_next_free_sgpr 42
		.amdhsa_reserve_vcc 1
		.amdhsa_float_round_mode_32 0
		.amdhsa_float_round_mode_16_64 0
		.amdhsa_float_denorm_mode_32 3
		.amdhsa_float_denorm_mode_16_64 3
		.amdhsa_fp16_overflow 0
		.amdhsa_workgroup_processor_mode 1
		.amdhsa_memory_ordered 1
		.amdhsa_forward_progress 1
		.amdhsa_inst_pref_size 13
		.amdhsa_round_robin_scheduling 0
		.amdhsa_exception_fp_ieee_invalid_op 0
		.amdhsa_exception_fp_denorm_src 0
		.amdhsa_exception_fp_ieee_div_zero 0
		.amdhsa_exception_fp_ieee_overflow 0
		.amdhsa_exception_fp_ieee_underflow 0
		.amdhsa_exception_fp_ieee_inexact 0
		.amdhsa_exception_int_div_zero 0
	.end_amdhsa_kernel
	.section	.text._ZL24rocblas_symm_hemm_kernelILb0ELb0ELi32EdPKdPdEvbiiT2_T3_lllS4_lllT4_llli,"axG",@progbits,_ZL24rocblas_symm_hemm_kernelILb0ELb0ELi32EdPKdPdEvbiiT2_T3_lllS4_lllT4_llli,comdat
.Lfunc_end10:
	.size	_ZL24rocblas_symm_hemm_kernelILb0ELb0ELi32EdPKdPdEvbiiT2_T3_lllS4_lllT4_llli, .Lfunc_end10-_ZL24rocblas_symm_hemm_kernelILb0ELb0ELi32EdPKdPdEvbiiT2_T3_lllS4_lllT4_llli
                                        ; -- End function
	.set _ZL24rocblas_symm_hemm_kernelILb0ELb0ELi32EdPKdPdEvbiiT2_T3_lllS4_lllT4_llli.num_vgpr, 35
	.set _ZL24rocblas_symm_hemm_kernelILb0ELb0ELi32EdPKdPdEvbiiT2_T3_lllS4_lllT4_llli.num_agpr, 0
	.set _ZL24rocblas_symm_hemm_kernelILb0ELb0ELi32EdPKdPdEvbiiT2_T3_lllS4_lllT4_llli.numbered_sgpr, 42
	.set _ZL24rocblas_symm_hemm_kernelILb0ELb0ELi32EdPKdPdEvbiiT2_T3_lllS4_lllT4_llli.num_named_barrier, 0
	.set _ZL24rocblas_symm_hemm_kernelILb0ELb0ELi32EdPKdPdEvbiiT2_T3_lllS4_lllT4_llli.private_seg_size, 0
	.set _ZL24rocblas_symm_hemm_kernelILb0ELb0ELi32EdPKdPdEvbiiT2_T3_lllS4_lllT4_llli.uses_vcc, 1
	.set _ZL24rocblas_symm_hemm_kernelILb0ELb0ELi32EdPKdPdEvbiiT2_T3_lllS4_lllT4_llli.uses_flat_scratch, 0
	.set _ZL24rocblas_symm_hemm_kernelILb0ELb0ELi32EdPKdPdEvbiiT2_T3_lllS4_lllT4_llli.has_dyn_sized_stack, 0
	.set _ZL24rocblas_symm_hemm_kernelILb0ELb0ELi32EdPKdPdEvbiiT2_T3_lllS4_lllT4_llli.has_recursion, 0
	.set _ZL24rocblas_symm_hemm_kernelILb0ELb0ELi32EdPKdPdEvbiiT2_T3_lllS4_lllT4_llli.has_indirect_call, 0
	.section	.AMDGPU.csdata,"",@progbits
; Kernel info:
; codeLenInByte = 1664
; TotalNumSgprs: 44
; NumVgprs: 35
; ScratchSize: 0
; MemoryBound: 0
; FloatMode: 240
; IeeeMode: 1
; LDSByteSize: 16384 bytes/workgroup (compile time only)
; SGPRBlocks: 0
; VGPRBlocks: 4
; NumSGPRsForWavesPerEU: 44
; NumVGPRsForWavesPerEU: 35
; Occupancy: 16
; WaveLimiterHint : 1
; COMPUTE_PGM_RSRC2:SCRATCH_EN: 0
; COMPUTE_PGM_RSRC2:USER_SGPR: 2
; COMPUTE_PGM_RSRC2:TRAP_HANDLER: 0
; COMPUTE_PGM_RSRC2:TGID_X_EN: 1
; COMPUTE_PGM_RSRC2:TGID_Y_EN: 1
; COMPUTE_PGM_RSRC2:TGID_Z_EN: 1
; COMPUTE_PGM_RSRC2:TIDIG_COMP_CNT: 1
	.section	.text._ZL24rocblas_symm_hemm_kernelILb0ELb1ELi32EdPKdPdEvbiiT2_T3_lllS4_lllT4_llli,"axG",@progbits,_ZL24rocblas_symm_hemm_kernelILb0ELb1ELi32EdPKdPdEvbiiT2_T3_lllS4_lllT4_llli,comdat
	.globl	_ZL24rocblas_symm_hemm_kernelILb0ELb1ELi32EdPKdPdEvbiiT2_T3_lllS4_lllT4_llli ; -- Begin function _ZL24rocblas_symm_hemm_kernelILb0ELb1ELi32EdPKdPdEvbiiT2_T3_lllS4_lllT4_llli
	.p2align	8
	.type	_ZL24rocblas_symm_hemm_kernelILb0ELb1ELi32EdPKdPdEvbiiT2_T3_lllS4_lllT4_llli,@function
_ZL24rocblas_symm_hemm_kernelILb0ELb1ELi32EdPKdPdEvbiiT2_T3_lllS4_lllT4_llli: ; @_ZL24rocblas_symm_hemm_kernelILb0ELb1ELi32EdPKdPdEvbiiT2_T3_lllS4_lllT4_llli
; %bb.0:
	s_load_b512 s[4:19], s[0:1], 0x10
	s_wait_kmcnt 0x0
	v_cmp_eq_f64_e64 s2, s[4:5], 0
	s_and_b32 vcc_lo, exec_lo, s2
	s_cbranch_vccnz .LBB11_16
; %bb.1:
	s_load_b32 s31, s[0:1], 0x78
	s_lshr_b32 s34, ttmp7, 16
	s_wait_kmcnt 0x0
	s_cmp_ge_u32 s34, s31
	s_cbranch_scc1 .LBB11_16
; %bb.2:
	s_clause 0x1
	s_load_b96 s[28:30], s[0:1], 0x0
	s_load_b256 s[20:27], s[0:1], 0x50
	v_and_b32_e32 v7, 0x3ff, v0
	v_bfe_u32 v8, v0, 10, 10
	s_lshl_b64 s[36:37], s[8:9], 3
	s_load_b64 s[8:9], s[0:1], 0x70
	s_add_nc_u64 s[6:7], s[6:7], s[36:37]
	v_lshl_add_u32 v0, ttmp9, 5, v7
	v_lshlrev_b32_e32 v2, 3, v8
	v_lshlrev_b32_e32 v9, 8, v7
	s_delay_alu instid0(VALU_DEP_3) | instskip(NEXT) | instid1(VALU_DEP_3)
	v_ashrrev_i32_e32 v1, 31, v0
	v_or_b32_e32 v10, 0x2000, v2
	s_delay_alu instid0(VALU_DEP_3) | instskip(NEXT) | instid1(VALU_DEP_3)
	v_add_nc_u32_e32 v11, v9, v2
	v_lshlrev_b64_e32 v[1:2], 3, v[0:1]
	s_delay_alu instid0(VALU_DEP_3)
	v_add_nc_u32_e32 v12, v10, v9
	v_add_nc_u32_e32 v17, 0x800, v10
	s_wait_kmcnt 0x0
	s_bitcmp1_b32 s28, 0
	v_cmp_gt_i32_e64 s2, s29, v0
	s_cselect_b32 s3, -1, 0
	s_add_co_i32 s33, s30, -1
	s_lshl_b64 s[16:17], s[16:17], 3
	s_ashr_i32 s35, s33, 31
	s_lshl_b64 s[28:29], s[24:25], 3
	s_lshr_b32 s25, s35, 27
	s_add_nc_u64 s[14:15], s[14:15], s[16:17]
	s_add_co_i32 s33, s33, s25
	s_wait_alu 0xfffe
	s_add_nc_u64 s[16:17], s[22:23], s[28:29]
	v_add_co_u32 v13, vcc_lo, s14, v1
	s_and_b32 s24, ttmp7, 0xffff
	s_ashr_i32 s25, s33, 5
	v_add_co_ci_u32_e64 v14, null, s15, v2, vcc_lo
	v_add_co_u32 v15, vcc_lo, s16, v1
	s_cmp_le_i32 s24, s25
	s_wait_alu 0xfffd
	v_add_co_ci_u32_e64 v16, null, s17, v2, vcc_lo
	v_add_nc_u32_e32 v18, 0x1000, v10
	v_add_nc_u32_e32 v19, 0x1800, v10
	s_cselect_b32 s22, -1, 0
	s_cmp_gt_i32 s30, 0
	s_mov_b32 s35, 0
	s_cselect_b32 s23, -1, 0
	s_add_nc_u64 s[14:15], s[0:1], 0x80
	s_branch .LBB11_4
.LBB11_3:                               ;   in Loop: Header=BB11_4 Depth=1
	s_add_co_i32 s34, s34, 0x10000
	s_delay_alu instid0(SALU_CYCLE_1)
	s_cmp_lt_u32 s34, s31
	s_cbranch_scc0 .LBB11_16
.LBB11_4:                               ; =>This Loop Header: Depth=1
                                        ;     Child Loop BB11_7 Depth 2
                                        ;       Child Loop BB11_10 Depth 3
	s_and_not1_b32 vcc_lo, exec_lo, s22
	s_wait_alu 0xfffe
	s_cbranch_vccnz .LBB11_3
; %bb.5:                                ;   in Loop: Header=BB11_4 Depth=1
	s_load_b32 s1, s[14:15], 0x4
	s_mul_u64 s[28:29], s[20:21], s[34:35]
	s_mul_u64 s[36:37], s[8:9], s[34:35]
	s_wait_alu 0xfffe
	s_lshl_b64 s[28:29], s[28:29], 3
	s_mul_u64 s[16:17], s[12:13], s[34:35]
	s_wait_alu 0xfffe
	v_add_co_u32 v20, vcc_lo, v13, s28
	s_wait_alu 0xfffd
	v_add_co_ci_u32_e64 v21, null, s29, v14, vcc_lo
	s_lshl_b64 s[28:29], s[36:37], 3
	s_lshl_b64 s[16:17], s[16:17], 3
	s_wait_alu 0xfffe
	v_add_co_u32 v22, vcc_lo, v15, s28
	s_wait_alu 0xfffd
	v_add_co_ci_u32_e64 v23, null, s29, v16, vcc_lo
	s_add_nc_u64 s[16:17], s[6:7], s[16:17]
	s_mov_b32 s28, s24
	s_branch .LBB11_7
.LBB11_6:                               ;   in Loop: Header=BB11_7 Depth=2
	s_wait_kmcnt 0x0
	s_add_co_i32 s28, s28, s1
	s_wait_alu 0xfffe
	s_cmp_gt_i32 s28, s25
	s_cbranch_scc1 .LBB11_3
.LBB11_7:                               ;   Parent Loop BB11_4 Depth=1
                                        ; =>  This Loop Header: Depth=2
                                        ;       Child Loop BB11_10 Depth 3
	s_and_not1_b32 vcc_lo, exec_lo, s23
	s_wait_alu 0xfffe
	s_cbranch_vccnz .LBB11_6
; %bb.8:                                ;   in Loop: Header=BB11_7 Depth=2
	v_lshl_add_u32 v24, s28, 5, v8
	s_mov_b32 s29, 0
	s_delay_alu instid0(VALU_DEP_1) | instskip(SKIP_3) | instid1(VALU_DEP_4)
	v_ashrrev_i32_e32 v2, 31, v24
	v_mul_lo_u32 v3, s27, v24
	v_mad_co_u64_u32 v[0:1], null, s26, v24, 0
	v_cmp_gt_i32_e32 vcc_lo, s30, v24
	v_mul_lo_u32 v2, s26, v2
	s_delay_alu instid0(VALU_DEP_1) | instskip(NEXT) | instid1(VALU_DEP_1)
	v_add3_u32 v1, v1, v2, v3
	v_lshlrev_b64_e32 v[0:1], 3, v[0:1]
	s_delay_alu instid0(VALU_DEP_1) | instskip(SKIP_1) | instid1(VALU_DEP_2)
	v_add_co_u32 v0, s0, v22, v0
	s_wait_alu 0xf1ff
	v_add_co_ci_u32_e64 v1, null, v23, v1, s0
	s_and_b32 s0, s2, vcc_lo
	s_branch .LBB11_10
.LBB11_9:                               ;   in Loop: Header=BB11_10 Depth=3
	s_or_b32 exec_lo, exec_lo, s33
	s_add_co_i32 s29, s29, 32
	s_wait_loadcnt 0x0
	s_wait_storecnt 0x0
	s_wait_alu 0xfffe
	s_cmp_ge_i32 s29, s30
	s_barrier_signal -1
	s_barrier_wait -1
	global_inv scope:SCOPE_SE
	s_cbranch_scc1 .LBB11_6
.LBB11_10:                              ;   Parent Loop BB11_4 Depth=1
                                        ;     Parent Loop BB11_7 Depth=2
                                        ; =>    This Inner Loop Header: Depth=3
	s_wait_alu 0xfffe
	v_add_nc_u32_e32 v4, s29, v8
	v_dual_mov_b32 v2, 0 :: v_dual_mov_b32 v5, 0
	v_dual_mov_b32 v3, 0 :: v_dual_mov_b32 v6, 0
	s_delay_alu instid0(VALU_DEP_3) | instskip(SKIP_1) | instid1(SALU_CYCLE_1)
	v_cmp_gt_i32_e32 vcc_lo, s30, v4
	s_and_b32 s36, s2, vcc_lo
	s_and_saveexec_b32 s33, s36
	s_cbranch_execz .LBB11_12
; %bb.11:                               ;   in Loop: Header=BB11_10 Depth=3
	v_ashrrev_i32_e32 v6, 31, v4
	v_mul_lo_u32 v25, s19, v4
	v_mad_co_u64_u32 v[4:5], null, s18, v4, 0
	s_delay_alu instid0(VALU_DEP_3) | instskip(NEXT) | instid1(VALU_DEP_1)
	v_mul_lo_u32 v6, s18, v6
	v_add3_u32 v5, v5, v6, v25
	s_delay_alu instid0(VALU_DEP_1) | instskip(NEXT) | instid1(VALU_DEP_1)
	v_lshlrev_b64_e32 v[4:5], 3, v[4:5]
	v_add_co_u32 v4, vcc_lo, v20, v4
	s_wait_alu 0xfffd
	s_delay_alu instid0(VALU_DEP_2)
	v_add_co_ci_u32_e64 v5, null, v21, v5, vcc_lo
	global_load_b64 v[5:6], v[4:5], off
.LBB11_12:                              ;   in Loop: Header=BB11_10 Depth=3
	s_or_b32 exec_lo, exec_lo, s33
	v_add_nc_u32_e32 v25, s29, v7
	s_mov_b32 s33, exec_lo
	s_wait_loadcnt 0x0
	ds_store_b64 v11, v[5:6]
	v_cndmask_b32_e64 v4, v24, v25, s3
	v_cndmask_b32_e64 v26, v25, v24, s3
	s_delay_alu instid0(VALU_DEP_1) | instskip(SKIP_2) | instid1(VALU_DEP_1)
	v_cmp_gt_i32_e32 vcc_lo, v4, v26
	s_wait_alu 0xfffd
	v_dual_cndmask_b32 v4, v25, v24 :: v_dual_cndmask_b32 v25, v24, v25
	v_max_i32_e32 v26, v4, v25
	s_delay_alu instid0(VALU_DEP_1)
	v_cmpx_gt_i32_e64 s30, v26
	s_cbranch_execz .LBB11_14
; %bb.13:                               ;   in Loop: Header=BB11_10 Depth=3
	v_ashrrev_i32_e32 v5, 31, v25
	v_mul_lo_u32 v6, s11, v25
	v_mad_co_u64_u32 v[2:3], null, s10, v25, 0
	s_delay_alu instid0(VALU_DEP_3) | instskip(NEXT) | instid1(VALU_DEP_1)
	v_mul_lo_u32 v5, s10, v5
	v_add3_u32 v3, v3, v5, v6
	v_ashrrev_i32_e32 v5, 31, v4
	s_delay_alu instid0(VALU_DEP_2) | instskip(NEXT) | instid1(VALU_DEP_2)
	v_lshlrev_b64_e32 v[2:3], 3, v[2:3]
	v_lshlrev_b64_e32 v[4:5], 3, v[4:5]
	s_delay_alu instid0(VALU_DEP_2) | instskip(SKIP_1) | instid1(VALU_DEP_3)
	v_add_co_u32 v2, vcc_lo, s16, v2
	s_wait_alu 0xfffd
	v_add_co_ci_u32_e64 v3, null, s17, v3, vcc_lo
	s_delay_alu instid0(VALU_DEP_2) | instskip(SKIP_1) | instid1(VALU_DEP_2)
	v_add_co_u32 v2, vcc_lo, v2, v4
	s_wait_alu 0xfffd
	v_add_co_ci_u32_e64 v3, null, v3, v5, vcc_lo
	global_load_b64 v[2:3], v[2:3], off
.LBB11_14:                              ;   in Loop: Header=BB11_10 Depth=3
	s_or_b32 exec_lo, exec_lo, s33
	s_wait_loadcnt 0x0
	ds_store_b64 v12, v[2:3]
	s_wait_dscnt 0x0
	s_barrier_signal -1
	s_barrier_wait -1
	global_inv scope:SCOPE_SE
	s_and_saveexec_b32 s33, s0
	s_cbranch_execz .LBB11_9
; %bb.15:                               ;   in Loop: Header=BB11_10 Depth=3
	ds_load_2addr_b64 v[2:5], v10 offset1:32
	ds_load_b128 v[25:28], v9
	ds_load_b128 v[29:32], v9 offset:16
	s_wait_dscnt 0x1
	v_fma_f64 v[2:3], v[25:26], v[2:3], 0
	s_delay_alu instid0(VALU_DEP_1) | instskip(SKIP_3) | instid1(VALU_DEP_1)
	v_fma_f64 v[25:26], v[27:28], v[4:5], v[2:3]
	ds_load_2addr_b64 v[2:5], v10 offset0:64 offset1:96
	s_wait_dscnt 0x0
	v_fma_f64 v[2:3], v[29:30], v[2:3], v[25:26]
	v_fma_f64 v[33:34], v[31:32], v[4:5], v[2:3]
	ds_load_2addr_b64 v[2:5], v10 offset0:128 offset1:160
	ds_load_b128 v[25:28], v9 offset:32
	ds_load_b128 v[29:32], v9 offset:48
	s_wait_dscnt 0x1
	v_fma_f64 v[2:3], v[25:26], v[2:3], v[33:34]
	s_delay_alu instid0(VALU_DEP_1) | instskip(SKIP_3) | instid1(VALU_DEP_1)
	v_fma_f64 v[25:26], v[27:28], v[4:5], v[2:3]
	ds_load_2addr_b64 v[2:5], v10 offset0:192 offset1:224
	s_wait_dscnt 0x0
	v_fma_f64 v[2:3], v[29:30], v[2:3], v[25:26]
	v_fma_f64 v[33:34], v[31:32], v[4:5], v[2:3]
	ds_load_2addr_b64 v[2:5], v17 offset1:32
	ds_load_b128 v[25:28], v9 offset:64
	ds_load_b128 v[29:32], v9 offset:80
	s_wait_dscnt 0x1
	v_fma_f64 v[2:3], v[25:26], v[2:3], v[33:34]
	s_delay_alu instid0(VALU_DEP_1) | instskip(SKIP_3) | instid1(VALU_DEP_1)
	v_fma_f64 v[25:26], v[27:28], v[4:5], v[2:3]
	ds_load_2addr_b64 v[2:5], v17 offset0:64 offset1:96
	s_wait_dscnt 0x0
	v_fma_f64 v[2:3], v[29:30], v[2:3], v[25:26]
	v_fma_f64 v[33:34], v[31:32], v[4:5], v[2:3]
	ds_load_2addr_b64 v[2:5], v17 offset0:128 offset1:160
	ds_load_b128 v[25:28], v9 offset:96
	ds_load_b128 v[29:32], v9 offset:112
	s_wait_dscnt 0x1
	v_fma_f64 v[2:3], v[25:26], v[2:3], v[33:34]
	s_delay_alu instid0(VALU_DEP_1) | instskip(SKIP_3) | instid1(VALU_DEP_1)
	v_fma_f64 v[25:26], v[27:28], v[4:5], v[2:3]
	ds_load_2addr_b64 v[2:5], v17 offset0:192 offset1:224
	s_wait_dscnt 0x0
	v_fma_f64 v[2:3], v[29:30], v[2:3], v[25:26]
	v_fma_f64 v[33:34], v[31:32], v[4:5], v[2:3]
	ds_load_2addr_b64 v[2:5], v18 offset1:32
	ds_load_b128 v[25:28], v9 offset:128
	ds_load_b128 v[29:32], v9 offset:144
	s_wait_dscnt 0x1
	v_fma_f64 v[2:3], v[25:26], v[2:3], v[33:34]
	s_delay_alu instid0(VALU_DEP_1) | instskip(SKIP_3) | instid1(VALU_DEP_1)
	v_fma_f64 v[25:26], v[27:28], v[4:5], v[2:3]
	ds_load_2addr_b64 v[2:5], v18 offset0:64 offset1:96
	s_wait_dscnt 0x0
	v_fma_f64 v[2:3], v[29:30], v[2:3], v[25:26]
	v_fma_f64 v[33:34], v[31:32], v[4:5], v[2:3]
	ds_load_2addr_b64 v[2:5], v18 offset0:128 offset1:160
	ds_load_b128 v[25:28], v9 offset:160
	ds_load_b128 v[29:32], v9 offset:176
	s_wait_dscnt 0x1
	v_fma_f64 v[2:3], v[25:26], v[2:3], v[33:34]
	s_delay_alu instid0(VALU_DEP_1) | instskip(SKIP_3) | instid1(VALU_DEP_1)
	v_fma_f64 v[25:26], v[27:28], v[4:5], v[2:3]
	ds_load_2addr_b64 v[2:5], v18 offset0:192 offset1:224
	s_wait_dscnt 0x0
	v_fma_f64 v[2:3], v[29:30], v[2:3], v[25:26]
	v_fma_f64 v[33:34], v[31:32], v[4:5], v[2:3]
	ds_load_b128 v[2:5], v9 offset:192
	ds_load_2addr_b64 v[25:28], v19 offset1:32
	global_load_b64 v[35:36], v[0:1], off
	ds_load_b128 v[29:32], v9 offset:208
	s_wait_dscnt 0x1
	v_fma_f64 v[2:3], v[2:3], v[25:26], v[33:34]
	s_delay_alu instid0(VALU_DEP_1) | instskip(SKIP_3) | instid1(VALU_DEP_1)
	v_fma_f64 v[25:26], v[4:5], v[27:28], v[2:3]
	ds_load_2addr_b64 v[2:5], v19 offset0:64 offset1:96
	s_wait_dscnt 0x0
	v_fma_f64 v[2:3], v[29:30], v[2:3], v[25:26]
	v_fma_f64 v[33:34], v[31:32], v[4:5], v[2:3]
	ds_load_2addr_b64 v[2:5], v19 offset0:128 offset1:160
	ds_load_b128 v[25:28], v9 offset:224
	ds_load_b128 v[29:32], v9 offset:240
	s_wait_dscnt 0x1
	v_fma_f64 v[2:3], v[25:26], v[2:3], v[33:34]
	s_delay_alu instid0(VALU_DEP_1) | instskip(SKIP_3) | instid1(VALU_DEP_1)
	v_fma_f64 v[25:26], v[27:28], v[4:5], v[2:3]
	ds_load_2addr_b64 v[2:5], v19 offset0:192 offset1:224
	s_wait_dscnt 0x0
	v_fma_f64 v[2:3], v[29:30], v[2:3], v[25:26]
	v_fma_f64 v[2:3], v[31:32], v[4:5], v[2:3]
	s_wait_loadcnt 0x0
	s_delay_alu instid0(VALU_DEP_1)
	v_fma_f64 v[2:3], s[4:5], v[2:3], v[35:36]
	global_store_b64 v[0:1], v[2:3], off
	s_branch .LBB11_9
.LBB11_16:
	s_endpgm
	.section	.rodata,"a",@progbits
	.p2align	6, 0x0
	.amdhsa_kernel _ZL24rocblas_symm_hemm_kernelILb0ELb1ELi32EdPKdPdEvbiiT2_T3_lllS4_lllT4_llli
		.amdhsa_group_segment_fixed_size 16384
		.amdhsa_private_segment_fixed_size 0
		.amdhsa_kernarg_size 384
		.amdhsa_user_sgpr_count 2
		.amdhsa_user_sgpr_dispatch_ptr 0
		.amdhsa_user_sgpr_queue_ptr 0
		.amdhsa_user_sgpr_kernarg_segment_ptr 1
		.amdhsa_user_sgpr_dispatch_id 0
		.amdhsa_user_sgpr_private_segment_size 0
		.amdhsa_wavefront_size32 1
		.amdhsa_uses_dynamic_stack 0
		.amdhsa_enable_private_segment 0
		.amdhsa_system_sgpr_workgroup_id_x 1
		.amdhsa_system_sgpr_workgroup_id_y 1
		.amdhsa_system_sgpr_workgroup_id_z 1
		.amdhsa_system_sgpr_workgroup_info 0
		.amdhsa_system_vgpr_workitem_id 1
		.amdhsa_next_free_vgpr 37
		.amdhsa_next_free_sgpr 38
		.amdhsa_reserve_vcc 1
		.amdhsa_float_round_mode_32 0
		.amdhsa_float_round_mode_16_64 0
		.amdhsa_float_denorm_mode_32 3
		.amdhsa_float_denorm_mode_16_64 3
		.amdhsa_fp16_overflow 0
		.amdhsa_workgroup_processor_mode 1
		.amdhsa_memory_ordered 1
		.amdhsa_forward_progress 1
		.amdhsa_inst_pref_size 13
		.amdhsa_round_robin_scheduling 0
		.amdhsa_exception_fp_ieee_invalid_op 0
		.amdhsa_exception_fp_denorm_src 0
		.amdhsa_exception_fp_ieee_div_zero 0
		.amdhsa_exception_fp_ieee_overflow 0
		.amdhsa_exception_fp_ieee_underflow 0
		.amdhsa_exception_fp_ieee_inexact 0
		.amdhsa_exception_int_div_zero 0
	.end_amdhsa_kernel
	.section	.text._ZL24rocblas_symm_hemm_kernelILb0ELb1ELi32EdPKdPdEvbiiT2_T3_lllS4_lllT4_llli,"axG",@progbits,_ZL24rocblas_symm_hemm_kernelILb0ELb1ELi32EdPKdPdEvbiiT2_T3_lllS4_lllT4_llli,comdat
.Lfunc_end11:
	.size	_ZL24rocblas_symm_hemm_kernelILb0ELb1ELi32EdPKdPdEvbiiT2_T3_lllS4_lllT4_llli, .Lfunc_end11-_ZL24rocblas_symm_hemm_kernelILb0ELb1ELi32EdPKdPdEvbiiT2_T3_lllS4_lllT4_llli
                                        ; -- End function
	.set _ZL24rocblas_symm_hemm_kernelILb0ELb1ELi32EdPKdPdEvbiiT2_T3_lllS4_lllT4_llli.num_vgpr, 37
	.set _ZL24rocblas_symm_hemm_kernelILb0ELb1ELi32EdPKdPdEvbiiT2_T3_lllS4_lllT4_llli.num_agpr, 0
	.set _ZL24rocblas_symm_hemm_kernelILb0ELb1ELi32EdPKdPdEvbiiT2_T3_lllS4_lllT4_llli.numbered_sgpr, 38
	.set _ZL24rocblas_symm_hemm_kernelILb0ELb1ELi32EdPKdPdEvbiiT2_T3_lllS4_lllT4_llli.num_named_barrier, 0
	.set _ZL24rocblas_symm_hemm_kernelILb0ELb1ELi32EdPKdPdEvbiiT2_T3_lllS4_lllT4_llli.private_seg_size, 0
	.set _ZL24rocblas_symm_hemm_kernelILb0ELb1ELi32EdPKdPdEvbiiT2_T3_lllS4_lllT4_llli.uses_vcc, 1
	.set _ZL24rocblas_symm_hemm_kernelILb0ELb1ELi32EdPKdPdEvbiiT2_T3_lllS4_lllT4_llli.uses_flat_scratch, 0
	.set _ZL24rocblas_symm_hemm_kernelILb0ELb1ELi32EdPKdPdEvbiiT2_T3_lllS4_lllT4_llli.has_dyn_sized_stack, 0
	.set _ZL24rocblas_symm_hemm_kernelILb0ELb1ELi32EdPKdPdEvbiiT2_T3_lllS4_lllT4_llli.has_recursion, 0
	.set _ZL24rocblas_symm_hemm_kernelILb0ELb1ELi32EdPKdPdEvbiiT2_T3_lllS4_lllT4_llli.has_indirect_call, 0
	.section	.AMDGPU.csdata,"",@progbits
; Kernel info:
; codeLenInByte = 1648
; TotalNumSgprs: 40
; NumVgprs: 37
; ScratchSize: 0
; MemoryBound: 0
; FloatMode: 240
; IeeeMode: 1
; LDSByteSize: 16384 bytes/workgroup (compile time only)
; SGPRBlocks: 0
; VGPRBlocks: 4
; NumSGPRsForWavesPerEU: 40
; NumVGPRsForWavesPerEU: 37
; Occupancy: 16
; WaveLimiterHint : 1
; COMPUTE_PGM_RSRC2:SCRATCH_EN: 0
; COMPUTE_PGM_RSRC2:USER_SGPR: 2
; COMPUTE_PGM_RSRC2:TRAP_HANDLER: 0
; COMPUTE_PGM_RSRC2:TGID_X_EN: 1
; COMPUTE_PGM_RSRC2:TGID_Y_EN: 1
; COMPUTE_PGM_RSRC2:TGID_Z_EN: 1
; COMPUTE_PGM_RSRC2:TIDIG_COMP_CNT: 1
	.section	.text._ZL25rocblas_symm_scale_kernelILi128ELi8EPK19rocblas_complex_numIfEPS1_EviiT1_T2_llli,"axG",@progbits,_ZL25rocblas_symm_scale_kernelILi128ELi8EPK19rocblas_complex_numIfEPS1_EviiT1_T2_llli,comdat
	.globl	_ZL25rocblas_symm_scale_kernelILi128ELi8EPK19rocblas_complex_numIfEPS1_EviiT1_T2_llli ; -- Begin function _ZL25rocblas_symm_scale_kernelILi128ELi8EPK19rocblas_complex_numIfEPS1_EviiT1_T2_llli
	.p2align	8
	.type	_ZL25rocblas_symm_scale_kernelILi128ELi8EPK19rocblas_complex_numIfEPS1_EviiT1_T2_llli,@function
_ZL25rocblas_symm_scale_kernelILi128ELi8EPK19rocblas_complex_numIfEPS1_EviiT1_T2_llli: ; @_ZL25rocblas_symm_scale_kernelILi128ELi8EPK19rocblas_complex_numIfEPS1_EviiT1_T2_llli
; %bb.0:
	s_load_b256 s[4:11], s[0:1], 0x8
	s_wait_kmcnt 0x0
	s_load_b64 s[4:5], s[4:5], 0x0
	s_wait_kmcnt 0x0
	s_cmp_eq_f32 s4, 1.0
	s_cselect_b32 s2, -1, 0
	s_cmp_eq_f32 s5, 0
	s_cselect_b32 s3, -1, 0
	s_delay_alu instid0(SALU_CYCLE_1) | instskip(NEXT) | instid1(SALU_CYCLE_1)
	s_and_b32 s2, s2, s3
	s_and_b32 vcc_lo, exec_lo, s2
	s_cbranch_vccnz .LBB12_9
; %bb.1:
	s_load_b32 s16, s[0:1], 0x30
	s_lshr_b32 s17, ttmp7, 16
	s_wait_kmcnt 0x0
	s_cmp_ge_u32 s17, s16
	s_cbranch_scc1 .LBB12_9
; %bb.2:
	v_bfe_u32 v1, v0, 10, 10
	s_and_b32 s2, ttmp7, 0xffff
	v_and_b32_e32 v0, 0x3ff, v0
	s_load_b64 s[14:15], s[0:1], 0x28
	s_delay_alu instid0(VALU_DEP_2) | instskip(SKIP_1) | instid1(VALU_DEP_1)
	v_lshl_add_u32 v1, s2, 3, v1
	s_load_b64 s[2:3], s[0:1], 0x0
	v_mad_co_u64_u32 v[3:4], null, s10, v1, 0
	s_delay_alu instid0(VALU_DEP_1) | instskip(NEXT) | instid1(VALU_DEP_1)
	v_mov_b32_e32 v2, v4
	v_mad_co_u64_u32 v[4:5], null, s11, v1, v[2:3]
	v_mov_b32_e32 v2, 0
	v_lshl_add_u32 v5, ttmp9, 7, v0
	s_wait_kmcnt 0x0
	s_ashr_i32 s13, s3, 31
	s_mov_b32 s12, s3
	s_or_b32 s3, s4, s5
	v_cmp_gt_i64_e32 vcc_lo, s[12:13], v[1:2]
	v_cmp_gt_u32_e64 s2, s2, v5
	v_mov_b32_e32 v6, v2
	s_wait_alu 0xfffe
	s_bitset0_b32 s3, 31
	v_lshlrev_b64_e32 v[3:4], 3, v[3:4]
	s_and_b32 s18, s2, vcc_lo
	s_wait_alu 0xfffe
	s_cmp_lg_u32 s3, 0
	v_lshlrev_b64_e32 v[5:6], 3, v[5:6]
	s_cselect_b32 s19, -1, 0
	s_lshl_b64 s[2:3], s[8:9], 3
	s_lshl_b64 s[8:9], s[14:15], 3
	s_wait_alu 0xfffe
	v_add_co_u32 v0, vcc_lo, v3, s2
	s_delay_alu instid0(VALU_DEP_1)
	v_add_co_ci_u32_e64 v3, null, s3, v4, vcc_lo
	s_mov_b32 s3, 0
	v_add_co_u32 v0, vcc_lo, v0, v5
	s_wait_alu 0xfffd
	v_add_co_ci_u32_e64 v3, null, v3, v6, vcc_lo
	s_lshl_b64 s[10:11], s[10:11], 3
	v_add_co_u32 v0, vcc_lo, s6, v0
	s_wait_alu 0xfffd
	v_add_co_ci_u32_e64 v4, null, s7, v3, vcc_lo
	s_add_nc_u64 s[6:7], s[0:1], 56
	v_add_co_u32 v3, vcc_lo, v0, 4
	s_wait_alu 0xfffd
	v_add_co_ci_u32_e64 v4, null, 0, v4, vcc_lo
	s_branch .LBB12_4
.LBB12_3:                               ;   in Loop: Header=BB12_4 Depth=1
	s_wait_alu 0xfffe
	s_or_b32 exec_lo, exec_lo, s1
	s_add_co_i32 s17, s17, 0x10000
	s_wait_alu 0xfffe
	s_cmp_lt_u32 s17, s16
	s_cbranch_scc0 .LBB12_9
.LBB12_4:                               ; =>This Loop Header: Depth=1
                                        ;     Child Loop BB12_7 Depth 2
	s_and_saveexec_b32 s1, s18
	s_cbranch_execz .LBB12_3
; %bb.5:                                ;   in Loop: Header=BB12_4 Depth=1
	s_load_b32 s0, s[6:7], 0x4
	v_mad_co_u64_u32 v[5:6], null, s8, s17, v[3:4]
	s_mov_b32 s20, 0
	v_mov_b32_e32 v0, v6
	s_delay_alu instid0(VALU_DEP_1)
	v_mad_co_u64_u32 v[6:7], null, s9, s17, v[0:1]
	v_dual_mov_b32 v8, v2 :: v_dual_mov_b32 v7, v1
	s_wait_kmcnt 0x0
	s_lshl_b32 s2, s0, 3
	s_wait_alu 0xfffe
	s_mul_u64 s[14:15], s[10:11], s[2:3]
	s_branch .LBB12_7
.LBB12_6:                               ;   in Loop: Header=BB12_7 Depth=2
	v_add_co_u32 v7, vcc_lo, v7, s2
	s_wait_alu 0xfffd
	v_add_co_ci_u32_e64 v8, null, 0, v8, vcc_lo
	global_store_b64 v[5:6], v[9:10], off offset:-4
	v_add_co_u32 v5, s0, v5, s14
	v_cmp_le_i64_e32 vcc_lo, s[12:13], v[7:8]
	s_wait_alu 0xf1ff
	v_add_co_ci_u32_e64 v6, null, s15, v6, s0
	s_or_b32 s20, vcc_lo, s20
	s_delay_alu instid0(SALU_CYCLE_1)
	s_and_not1_b32 exec_lo, exec_lo, s20
	s_cbranch_execz .LBB12_3
.LBB12_7:                               ;   Parent Loop BB12_4 Depth=1
                                        ; =>  This Inner Loop Header: Depth=2
	v_dual_mov_b32 v10, 0 :: v_dual_mov_b32 v9, 0
	s_and_not1_b32 vcc_lo, exec_lo, s19
	s_wait_alu 0xfffe
	s_cbranch_vccnz .LBB12_6
; %bb.8:                                ;   in Loop: Header=BB12_7 Depth=2
	global_load_b64 v[11:12], v[5:6], off offset:-4
	s_wait_loadcnt 0x0
	v_mul_f32_e32 v0, s5, v12
	v_mul_f32_e32 v10, s4, v12
	s_delay_alu instid0(VALU_DEP_2) | instskip(NEXT) | instid1(VALU_DEP_2)
	v_fma_f32 v9, v11, s4, -v0
	v_fmac_f32_e32 v10, s5, v11
	s_branch .LBB12_6
.LBB12_9:
	s_endpgm
	.section	.rodata,"a",@progbits
	.p2align	6, 0x0
	.amdhsa_kernel _ZL25rocblas_symm_scale_kernelILi128ELi8EPK19rocblas_complex_numIfEPS1_EviiT1_T2_llli
		.amdhsa_group_segment_fixed_size 0
		.amdhsa_private_segment_fixed_size 0
		.amdhsa_kernarg_size 312
		.amdhsa_user_sgpr_count 2
		.amdhsa_user_sgpr_dispatch_ptr 0
		.amdhsa_user_sgpr_queue_ptr 0
		.amdhsa_user_sgpr_kernarg_segment_ptr 1
		.amdhsa_user_sgpr_dispatch_id 0
		.amdhsa_user_sgpr_private_segment_size 0
		.amdhsa_wavefront_size32 1
		.amdhsa_uses_dynamic_stack 0
		.amdhsa_enable_private_segment 0
		.amdhsa_system_sgpr_workgroup_id_x 1
		.amdhsa_system_sgpr_workgroup_id_y 1
		.amdhsa_system_sgpr_workgroup_id_z 1
		.amdhsa_system_sgpr_workgroup_info 0
		.amdhsa_system_vgpr_workitem_id 1
		.amdhsa_next_free_vgpr 13
		.amdhsa_next_free_sgpr 21
		.amdhsa_reserve_vcc 1
		.amdhsa_float_round_mode_32 0
		.amdhsa_float_round_mode_16_64 0
		.amdhsa_float_denorm_mode_32 3
		.amdhsa_float_denorm_mode_16_64 3
		.amdhsa_fp16_overflow 0
		.amdhsa_workgroup_processor_mode 1
		.amdhsa_memory_ordered 1
		.amdhsa_forward_progress 1
		.amdhsa_inst_pref_size 5
		.amdhsa_round_robin_scheduling 0
		.amdhsa_exception_fp_ieee_invalid_op 0
		.amdhsa_exception_fp_denorm_src 0
		.amdhsa_exception_fp_ieee_div_zero 0
		.amdhsa_exception_fp_ieee_overflow 0
		.amdhsa_exception_fp_ieee_underflow 0
		.amdhsa_exception_fp_ieee_inexact 0
		.amdhsa_exception_int_div_zero 0
	.end_amdhsa_kernel
	.section	.text._ZL25rocblas_symm_scale_kernelILi128ELi8EPK19rocblas_complex_numIfEPS1_EviiT1_T2_llli,"axG",@progbits,_ZL25rocblas_symm_scale_kernelILi128ELi8EPK19rocblas_complex_numIfEPS1_EviiT1_T2_llli,comdat
.Lfunc_end12:
	.size	_ZL25rocblas_symm_scale_kernelILi128ELi8EPK19rocblas_complex_numIfEPS1_EviiT1_T2_llli, .Lfunc_end12-_ZL25rocblas_symm_scale_kernelILi128ELi8EPK19rocblas_complex_numIfEPS1_EviiT1_T2_llli
                                        ; -- End function
	.set _ZL25rocblas_symm_scale_kernelILi128ELi8EPK19rocblas_complex_numIfEPS1_EviiT1_T2_llli.num_vgpr, 13
	.set _ZL25rocblas_symm_scale_kernelILi128ELi8EPK19rocblas_complex_numIfEPS1_EviiT1_T2_llli.num_agpr, 0
	.set _ZL25rocblas_symm_scale_kernelILi128ELi8EPK19rocblas_complex_numIfEPS1_EviiT1_T2_llli.numbered_sgpr, 21
	.set _ZL25rocblas_symm_scale_kernelILi128ELi8EPK19rocblas_complex_numIfEPS1_EviiT1_T2_llli.num_named_barrier, 0
	.set _ZL25rocblas_symm_scale_kernelILi128ELi8EPK19rocblas_complex_numIfEPS1_EviiT1_T2_llli.private_seg_size, 0
	.set _ZL25rocblas_symm_scale_kernelILi128ELi8EPK19rocblas_complex_numIfEPS1_EviiT1_T2_llli.uses_vcc, 1
	.set _ZL25rocblas_symm_scale_kernelILi128ELi8EPK19rocblas_complex_numIfEPS1_EviiT1_T2_llli.uses_flat_scratch, 0
	.set _ZL25rocblas_symm_scale_kernelILi128ELi8EPK19rocblas_complex_numIfEPS1_EviiT1_T2_llli.has_dyn_sized_stack, 0
	.set _ZL25rocblas_symm_scale_kernelILi128ELi8EPK19rocblas_complex_numIfEPS1_EviiT1_T2_llli.has_recursion, 0
	.set _ZL25rocblas_symm_scale_kernelILi128ELi8EPK19rocblas_complex_numIfEPS1_EviiT1_T2_llli.has_indirect_call, 0
	.section	.AMDGPU.csdata,"",@progbits
; Kernel info:
; codeLenInByte = 580
; TotalNumSgprs: 23
; NumVgprs: 13
; ScratchSize: 0
; MemoryBound: 0
; FloatMode: 240
; IeeeMode: 1
; LDSByteSize: 0 bytes/workgroup (compile time only)
; SGPRBlocks: 0
; VGPRBlocks: 1
; NumSGPRsForWavesPerEU: 23
; NumVGPRsForWavesPerEU: 13
; Occupancy: 16
; WaveLimiterHint : 0
; COMPUTE_PGM_RSRC2:SCRATCH_EN: 0
; COMPUTE_PGM_RSRC2:USER_SGPR: 2
; COMPUTE_PGM_RSRC2:TRAP_HANDLER: 0
; COMPUTE_PGM_RSRC2:TGID_X_EN: 1
; COMPUTE_PGM_RSRC2:TGID_Y_EN: 1
; COMPUTE_PGM_RSRC2:TGID_Z_EN: 1
; COMPUTE_PGM_RSRC2:TIDIG_COMP_CNT: 1
	.section	.text._ZL24rocblas_symm_hemm_kernelILb0ELb0ELi32EPK19rocblas_complex_numIfES3_PS1_EvbiiT2_T3_lllS6_lllT4_llli,"axG",@progbits,_ZL24rocblas_symm_hemm_kernelILb0ELb0ELi32EPK19rocblas_complex_numIfES3_PS1_EvbiiT2_T3_lllS6_lllT4_llli,comdat
	.globl	_ZL24rocblas_symm_hemm_kernelILb0ELb0ELi32EPK19rocblas_complex_numIfES3_PS1_EvbiiT2_T3_lllS6_lllT4_llli ; -- Begin function _ZL24rocblas_symm_hemm_kernelILb0ELb0ELi32EPK19rocblas_complex_numIfES3_PS1_EvbiiT2_T3_lllS6_lllT4_llli
	.p2align	8
	.type	_ZL24rocblas_symm_hemm_kernelILb0ELb0ELi32EPK19rocblas_complex_numIfES3_PS1_EvbiiT2_T3_lllS6_lllT4_llli,@function
_ZL24rocblas_symm_hemm_kernelILb0ELb0ELi32EPK19rocblas_complex_numIfES3_PS1_EvbiiT2_T3_lllS6_lllT4_llli: ; @_ZL24rocblas_symm_hemm_kernelILb0ELb0ELi32EPK19rocblas_complex_numIfES3_PS1_EvbiiT2_T3_lllS6_lllT4_llli
; %bb.0:
	s_load_b512 s[4:19], s[0:1], 0x10
	s_wait_kmcnt 0x0
	s_load_b64 s[4:5], s[4:5], 0x0
	s_wait_kmcnt 0x0
	s_cmp_eq_f32 s4, 0
	s_cselect_b32 s2, -1, 0
	s_cmp_eq_f32 s5, 0
	s_cselect_b32 s3, -1, 0
	s_delay_alu instid0(SALU_CYCLE_1) | instskip(NEXT) | instid1(SALU_CYCLE_1)
	s_and_b32 s2, s2, s3
	s_and_b32 vcc_lo, exec_lo, s2
	s_cbranch_vccnz .LBB13_16
; %bb.1:
	s_load_b32 s31, s[0:1], 0x78
	s_lshr_b32 s34, ttmp7, 16
	s_wait_kmcnt 0x0
	s_cmp_ge_u32 s34, s31
	s_cbranch_scc1 .LBB13_16
; %bb.2:
	s_clause 0x1
	s_load_b96 s[28:30], s[0:1], 0x0
	s_load_b256 s[20:27], s[0:1], 0x50
	v_bfe_u32 v9, v0, 10, 10
	v_and_b32_e32 v10, 0x3ff, v0
	s_lshl_b64 s[2:3], s[8:9], 3
	s_load_b64 s[8:9], s[0:1], 0x70
	s_lshl_b64 s[16:17], s[16:17], 3
	v_lshlrev_b32_e32 v1, 3, v9
	v_lshlrev_b32_e32 v11, 8, v10
	v_lshl_add_u32 v0, ttmp9, 5, v10
	s_add_nc_u64 s[6:7], s[6:7], s[2:3]
	s_add_nc_u64 s[14:15], s[14:15], s[16:17]
	v_or_b32_e32 v12, 0x2000, v1
	v_add_nc_u32_e32 v13, v11, v1
	v_ashrrev_i32_e32 v1, 31, v0
	s_mov_b32 s35, 0
	s_add_nc_u64 s[16:17], s[0:1], 0x80
	v_add_nc_u32_e32 v14, v12, v11
	v_add_nc_u32_e32 v17, 0x800, v12
	v_lshlrev_b64_e32 v[1:2], 3, v[0:1]
	s_wait_kmcnt 0x0
	s_bitcmp1_b32 s28, 0
	v_cmp_gt_i32_e64 s3, s29, v0
	s_cselect_b32 s2, -1, 0
	s_add_co_i32 s28, s30, -1
	s_lshl_b64 s[24:25], s[24:25], 3
	s_wait_alu 0xfffe
	s_ashr_i32 s33, s28, 31
	s_add_nc_u64 s[22:23], s[22:23], s[24:25]
	s_lshr_b32 s33, s33, 27
	v_add_co_u32 v15, vcc_lo, s22, v1
	s_add_co_i32 s33, s28, s33
	s_and_b32 s28, ttmp7, 0xffff
	s_ashr_i32 s33, s33, 5
	v_add_co_ci_u32_e64 v16, null, s23, v2, vcc_lo
	s_wait_alu 0xfffe
	s_cmp_le_i32 s28, s33
	v_add_nc_u32_e32 v18, 0x1000, v12
	v_add_nc_u32_e32 v19, 0x1800, v12
	s_cselect_b32 s36, -1, 0
	s_cmp_gt_i32 s29, 0
	s_cselect_b32 s37, -1, 0
	s_branch .LBB13_4
.LBB13_3:                               ;   in Loop: Header=BB13_4 Depth=1
	s_add_co_i32 s34, s34, 0x10000
	s_delay_alu instid0(SALU_CYCLE_1)
	s_cmp_lt_u32 s34, s31
	s_cbranch_scc0 .LBB13_16
.LBB13_4:                               ; =>This Loop Header: Depth=1
                                        ;     Child Loop BB13_7 Depth 2
                                        ;       Child Loop BB13_10 Depth 3
	s_and_not1_b32 vcc_lo, exec_lo, s36
	s_wait_alu 0xfffe
	s_cbranch_vccnz .LBB13_3
; %bb.5:                                ;   in Loop: Header=BB13_4 Depth=1
	s_load_b32 s1, s[16:17], 0x4
	s_mul_u64 s[38:39], s[8:9], s[34:35]
	s_mul_u64 s[22:23], s[12:13], s[34:35]
	s_wait_alu 0xfffe
	s_lshl_b64 s[38:39], s[38:39], 3
	s_mul_u64 s[24:25], s[20:21], s[34:35]
	s_wait_alu 0xfffe
	v_add_co_u32 v20, vcc_lo, v15, s38
	s_wait_alu 0xfffd
	v_add_co_ci_u32_e64 v21, null, s39, v16, vcc_lo
	s_lshl_b64 s[22:23], s[22:23], 3
	s_lshl_b64 s[24:25], s[24:25], 3
	s_wait_alu 0xfffe
	s_add_nc_u64 s[22:23], s[6:7], s[22:23]
	s_add_nc_u64 s[24:25], s[14:15], s[24:25]
	s_mov_b32 s38, s28
	s_branch .LBB13_7
.LBB13_6:                               ;   in Loop: Header=BB13_7 Depth=2
	s_wait_kmcnt 0x0
	s_add_co_i32 s38, s38, s1
	s_wait_alu 0xfffe
	s_cmp_gt_i32 s38, s33
	s_cbranch_scc1 .LBB13_3
.LBB13_7:                               ;   Parent Loop BB13_4 Depth=1
                                        ; =>  This Loop Header: Depth=2
                                        ;       Child Loop BB13_10 Depth 3
	s_and_not1_b32 vcc_lo, exec_lo, s37
	s_wait_alu 0xfffe
	s_cbranch_vccnz .LBB13_6
; %bb.8:                                ;   in Loop: Header=BB13_7 Depth=2
	v_lshl_add_u32 v5, s38, 5, v9
	s_mov_b32 s40, 0
	s_delay_alu instid0(VALU_DEP_1) | instskip(SKIP_3) | instid1(VALU_DEP_4)
	v_ashrrev_i32_e32 v6, 31, v5
	v_mul_lo_u32 v7, s19, v5
	v_mad_co_u64_u32 v[1:2], null, s18, v5, 0
	v_mul_lo_u32 v22, s27, v5
	v_mul_lo_u32 v8, s18, v6
	v_mad_co_u64_u32 v[3:4], null, s26, v5, 0
	v_mul_lo_u32 v6, s26, v6
	v_cmp_gt_i32_e32 vcc_lo, s30, v5
	s_delay_alu instid0(VALU_DEP_4) | instskip(SKIP_1) | instid1(VALU_DEP_3)
	v_add3_u32 v2, v2, v8, v7
	s_and_b32 s39, s3, vcc_lo
	v_add3_u32 v4, v4, v6, v22
	s_delay_alu instid0(VALU_DEP_2) | instskip(NEXT) | instid1(VALU_DEP_2)
	v_lshlrev_b64_e32 v[1:2], 3, v[1:2]
	v_lshlrev_b64_e32 v[3:4], 3, v[3:4]
	s_delay_alu instid0(VALU_DEP_2) | instskip(SKIP_1) | instid1(VALU_DEP_3)
	v_add_co_u32 v22, s0, s24, v1
	s_wait_alu 0xf1ff
	v_add_co_ci_u32_e64 v23, null, s25, v2, s0
	s_delay_alu instid0(VALU_DEP_3)
	v_add_co_u32 v1, s0, v20, v3
	s_wait_alu 0xf1ff
	v_add_co_ci_u32_e64 v2, null, v21, v4, s0
	s_branch .LBB13_10
.LBB13_9:                               ;   in Loop: Header=BB13_10 Depth=3
	s_wait_alu 0xfffe
	s_or_b32 exec_lo, exec_lo, s0
	s_add_co_i32 s40, s40, 32
	s_wait_loadcnt 0x0
	s_wait_storecnt 0x0
	s_wait_alu 0xfffe
	s_cmp_ge_i32 s40, s29
	s_barrier_signal -1
	s_barrier_wait -1
	global_inv scope:SCOPE_SE
	s_cbranch_scc1 .LBB13_6
.LBB13_10:                              ;   Parent Loop BB13_4 Depth=1
                                        ;     Parent Loop BB13_7 Depth=2
                                        ; =>    This Inner Loop Header: Depth=3
	s_wait_alu 0xfffe
	v_add_nc_u32_e32 v3, s40, v9
	s_delay_alu instid0(VALU_DEP_1) | instskip(SKIP_1) | instid1(VALU_DEP_1)
	v_cndmask_b32_e64 v4, v3, v0, s2
	v_cndmask_b32_e64 v5, v0, v3, s2
	v_cmp_gt_i32_e64 s0, v4, v5
	v_mov_b32_e32 v5, 0
	s_wait_alu 0xf1ff
	s_delay_alu instid0(VALU_DEP_2) | instskip(SKIP_2) | instid1(VALU_DEP_2)
	v_cndmask_b32_e64 v4, v0, v3, s0
	v_cndmask_b32_e64 v7, v3, v0, s0
	v_mov_b32_e32 v3, 0
	v_max_i32_e32 v6, v4, v7
	s_delay_alu instid0(VALU_DEP_1)
	v_cmp_gt_i32_e64 s0, s29, v6
	v_mov_b32_e32 v6, 0
	s_and_saveexec_b32 s41, s0
	s_cbranch_execz .LBB13_12
; %bb.11:                               ;   in Loop: Header=BB13_10 Depth=3
	v_ashrrev_i32_e32 v5, 31, v7
	v_mul_lo_u32 v8, s11, v7
	v_mad_co_u64_u32 v[6:7], null, s10, v7, 0
	s_delay_alu instid0(VALU_DEP_3) | instskip(NEXT) | instid1(VALU_DEP_1)
	v_mul_lo_u32 v5, s10, v5
	v_add3_u32 v7, v7, v5, v8
	v_ashrrev_i32_e32 v5, 31, v4
	s_delay_alu instid0(VALU_DEP_2) | instskip(NEXT) | instid1(VALU_DEP_2)
	v_lshlrev_b64_e32 v[6:7], 3, v[6:7]
	v_lshlrev_b64_e32 v[4:5], 3, v[4:5]
	s_delay_alu instid0(VALU_DEP_2) | instskip(SKIP_1) | instid1(VALU_DEP_3)
	v_add_co_u32 v6, s0, s22, v6
	s_wait_alu 0xf1ff
	v_add_co_ci_u32_e64 v7, null, s23, v7, s0
	s_delay_alu instid0(VALU_DEP_2) | instskip(SKIP_1) | instid1(VALU_DEP_2)
	v_add_co_u32 v4, s0, v6, v4
	s_wait_alu 0xf1ff
	v_add_co_ci_u32_e64 v5, null, v7, v5, s0
	global_load_b64 v[5:6], v[4:5], off
.LBB13_12:                              ;   in Loop: Header=BB13_10 Depth=3
	s_wait_alu 0xfffe
	s_or_b32 exec_lo, exec_lo, s41
	v_dual_mov_b32 v4, 0 :: v_dual_add_nc_u32 v7, s40, v10
	s_wait_loadcnt 0x0
	ds_store_b64 v13, v[5:6]
	v_cmp_gt_i32_e64 s0, s29, v7
	s_and_b32 s0, s0, vcc_lo
	s_wait_alu 0xfffe
	s_and_saveexec_b32 s41, s0
	s_cbranch_execz .LBB13_14
; %bb.13:                               ;   in Loop: Header=BB13_10 Depth=3
	v_ashrrev_i32_e32 v8, 31, v7
	s_delay_alu instid0(VALU_DEP_1) | instskip(NEXT) | instid1(VALU_DEP_1)
	v_lshlrev_b64_e32 v[3:4], 3, v[7:8]
	v_add_co_u32 v3, s0, v22, v3
	s_wait_alu 0xf1ff
	s_delay_alu instid0(VALU_DEP_2)
	v_add_co_ci_u32_e64 v4, null, v23, v4, s0
	global_load_b64 v[3:4], v[3:4], off
.LBB13_14:                              ;   in Loop: Header=BB13_10 Depth=3
	s_wait_alu 0xfffe
	s_or_b32 exec_lo, exec_lo, s41
	s_wait_loadcnt 0x0
	ds_store_b64 v14, v[3:4]
	s_wait_dscnt 0x0
	s_barrier_signal -1
	s_barrier_wait -1
	global_inv scope:SCOPE_SE
	s_and_saveexec_b32 s0, s39
	s_cbranch_execz .LBB13_9
; %bb.15:                               ;   in Loop: Header=BB13_10 Depth=3
	global_load_b64 v[3:4], v[1:2], off
	ds_load_2addr_b64 v[5:8], v12 offset1:32
	ds_load_b128 v[24:27], v11
	ds_load_b128 v[28:31], v11 offset:16
	ds_load_b128 v[32:35], v11 offset:32
	;; [unrolled: 1-line block ×3, first 2 shown]
	ds_load_2addr_b64 v[40:43], v12 offset0:64 offset1:96
	ds_load_2addr_b64 v[44:47], v12 offset0:128 offset1:160
	;; [unrolled: 1-line block ×3, first 2 shown]
	ds_load_2addr_b64 v[52:55], v17 offset1:32
	ds_load_b128 v[56:59], v11 offset:64
	ds_load_b128 v[60:63], v11 offset:80
	ds_load_2addr_b64 v[64:67], v17 offset0:64 offset1:96
	ds_load_2addr_b64 v[68:71], v17 offset0:128 offset1:160
	ds_load_b128 v[72:75], v11 offset:96
	ds_load_b128 v[76:79], v11 offset:112
	ds_load_2addr_b64 v[80:83], v17 offset0:192 offset1:224
	ds_load_2addr_b64 v[84:87], v18 offset1:32
	ds_load_b128 v[88:91], v11 offset:128
	ds_load_b128 v[92:95], v11 offset:144
	ds_load_2addr_b64 v[96:99], v18 offset0:64 offset1:96
	ds_load_2addr_b64 v[100:103], v18 offset0:128 offset1:160
	ds_load_b128 v[104:107], v11 offset:160
	ds_load_b128 v[108:111], v11 offset:176
	ds_load_2addr_b64 v[112:115], v18 offset0:192 offset1:224
	ds_load_2addr_b64 v[116:119], v19 offset1:32
	s_wait_dscnt 0x17
	v_dual_mul_f32 v121, v5, v25 :: v_dual_mul_f32 v122, v7, v27
	v_dual_mul_f32 v120, v6, v25 :: v_dual_mul_f32 v25, v8, v27
	s_wait_dscnt 0x13
	v_mul_f32_e32 v27, v41, v29
	s_wait_dscnt 0x12
	v_dual_fmac_f32 v121, v6, v24 :: v_dual_mul_f32 v126, v44, v33
	v_mul_f32_e32 v123, v40, v29
	v_mul_f32_e32 v29, v43, v31
	s_wait_dscnt 0x11
	v_dual_mul_f32 v125, v42, v31 :: v_dual_mul_f32 v132, v48, v37
	v_mul_f32_e32 v31, v45, v33
	v_dual_mul_f32 v33, v47, v35 :: v_dual_fmac_f32 v122, v8, v26
	v_fma_f32 v128, v40, v28, -v27
	s_delay_alu instid0(VALU_DEP_4) | instskip(NEXT) | instid1(VALU_DEP_3)
	v_dual_fmac_f32 v132, v49, v36 :: v_dual_mul_f32 v127, v46, v35
	v_fma_f32 v131, v46, v34, -v33
	v_mul_f32_e32 v33, v51, v39
	v_fma_f32 v130, v44, v32, -v31
	v_fmac_f32_e32 v126, v45, v32
	v_dual_mul_f32 v32, v49, v37 :: v_dual_mul_f32 v133, v50, v39
	s_wait_dscnt 0xf
	v_mul_f32_e32 v37, v53, v57
	v_fma_f32 v49, v50, v38, -v33
	v_mul_f32_e32 v50, v52, v57
	v_fma_f32 v120, v5, v24, -v120
	v_fma_f32 v129, v42, v30, -v29
	v_fmac_f32_e32 v125, v43, v30
	v_fma_f32 v48, v48, v36, -v32
	v_mul_f32_e32 v36, v55, v59
	v_fma_f32 v52, v52, v56, -v37
	v_fmac_f32_e32 v50, v53, v56
	s_wait_dscnt 0xd
	v_dual_mul_f32 v56, v65, v61 :: v_dual_fmac_f32 v133, v51, v38
	v_mul_f32_e32 v51, v54, v59
	v_mul_f32_e32 v57, v64, v61
	v_fma_f32 v124, v7, v26, -v25
	v_add_f32_e32 v37, 0, v120
	v_fma_f32 v53, v54, v58, -v36
	v_mul_f32_e32 v59, v66, v63
	v_fma_f32 v56, v64, v60, -v56
	s_wait_dscnt 0xb
	v_dual_fmac_f32 v57, v65, v60 :: v_dual_mul_f32 v60, v68, v73
	s_wait_dscnt 0x9
	v_dual_fmac_f32 v51, v55, v58 :: v_dual_mul_f32 v64, v81, v77
	v_mul_f32_e32 v58, v67, v63
	v_fmac_f32_e32 v59, v67, v62
	v_dual_fmac_f32 v123, v41, v28 :: v_dual_add_f32 v38, 0, v121
	ds_load_b128 v[5:8], v11 offset:192
	ds_load_b128 v[24:27], v11 offset:208
	v_fma_f32 v58, v66, v62, -v58
	v_mul_f32_e32 v62, v71, v75
	v_dual_fmac_f32 v127, v47, v34 :: v_dual_add_f32 v54, v37, v124
	v_dual_add_f32 v55, v38, v122 :: v_dual_mul_f32 v66, v83, v79
	ds_load_2addr_b64 v[28:31], v19 offset0:64 offset1:96
	ds_load_2addr_b64 v[32:35], v19 offset0:128 offset1:160
	v_add_f32_e32 v54, v54, v128
	ds_load_b128 v[36:39], v11 offset:224
	ds_load_b128 v[40:43], v11 offset:240
	ds_load_2addr_b64 v[44:47], v19 offset0:192 offset1:224
	v_fmac_f32_e32 v60, v69, v72
	v_dual_add_f32 v54, v54, v129 :: v_dual_add_f32 v55, v55, v123
	s_delay_alu instid0(VALU_DEP_1) | instskip(NEXT) | instid1(VALU_DEP_1)
	v_add_f32_e32 v54, v54, v130
	v_dual_add_f32 v54, v54, v131 :: v_dual_add_f32 v55, v55, v125
	s_delay_alu instid0(VALU_DEP_1) | instskip(SKIP_2) | instid1(VALU_DEP_2)
	v_dual_add_f32 v48, v54, v48 :: v_dual_add_f32 v55, v55, v126
	s_wait_dscnt 0xe
	v_mul_f32_e32 v54, v84, v89
	v_add_f32_e32 v48, v48, v49
	s_wait_dscnt 0xc
	v_mul_f32_e32 v49, v97, v93
	s_delay_alu instid0(VALU_DEP_3) | instskip(NEXT) | instid1(VALU_DEP_3)
	v_fmac_f32_e32 v54, v85, v88
	v_add_f32_e32 v48, v48, v52
	v_mul_f32_e32 v52, v98, v95
	v_add_f32_e32 v55, v55, v127
	v_mul_f32_e32 v63, v70, v75
	s_delay_alu instid0(VALU_DEP_4) | instskip(SKIP_1) | instid1(VALU_DEP_4)
	v_dual_mul_f32 v75, v87, v91 :: v_dual_add_f32 v48, v48, v53
	v_mul_f32_e32 v67, v82, v79
	v_add_f32_e32 v55, v55, v132
	v_fmac_f32_e32 v52, v99, v94
	s_delay_alu instid0(VALU_DEP_4)
	v_add_f32_e32 v48, v48, v56
	s_wait_dscnt 0x8
	v_mul_f32_e32 v56, v112, v109
	v_add_f32_e32 v55, v55, v133
	v_mul_f32_e32 v61, v69, v73
	v_fmac_f32_e32 v67, v83, v78
	v_add_f32_e32 v48, v48, v58
	v_mul_f32_e32 v58, v115, v111
	v_dual_add_f32 v50, v55, v50 :: v_dual_mul_f32 v65, v80, v77
	v_mul_f32_e32 v77, v86, v91
	v_mul_f32_e32 v91, v100, v105
	v_fma_f32 v49, v96, v92, -v49
	s_delay_alu instid0(VALU_DEP_4) | instskip(NEXT) | instid1(VALU_DEP_4)
	v_dual_add_f32 v50, v50, v51 :: v_dual_fmac_f32 v65, v81, v76
	v_fmac_f32_e32 v77, v87, v90
	s_delay_alu instid0(VALU_DEP_2)
	v_dual_fmac_f32 v91, v101, v104 :: v_dual_add_f32 v50, v50, v57
	v_fma_f32 v57, v68, v72, -v61
	v_mul_f32_e32 v73, v85, v89
	v_mul_f32_e32 v89, v99, v95
	v_fma_f32 v61, v82, v78, -v66
	v_add_f32_e32 v50, v50, v59
	v_fma_f32 v59, v70, v74, -v62
	v_add_f32_e32 v48, v48, v57
	v_mul_f32_e32 v55, v101, v105
	v_fma_f32 v62, v86, v90, -v75
	v_add_f32_e32 v50, v50, v60
	v_fma_f32 v60, v80, v76, -v64
	v_add_f32_e32 v48, v48, v59
	s_delay_alu instid0(VALU_DEP_1) | instskip(SKIP_2) | instid1(VALU_DEP_3)
	v_dual_mul_f32 v53, v102, v107 :: v_dual_add_f32 v48, v48, v60
	v_mul_f32_e32 v57, v114, v111
	v_fma_f32 v60, v84, v88, -v73
	v_dual_fmac_f32 v53, v103, v106 :: v_dual_add_f32 v48, v48, v61
	s_wait_dscnt 0x6
	v_mul_f32_e32 v61, v119, v8
	v_dual_mul_f32 v8, v118, v8 :: v_dual_fmac_f32 v63, v71, v74
	v_mul_f32_e32 v79, v96, v93
	v_dual_mul_f32 v59, v117, v6 :: v_dual_add_f32 v48, v48, v60
	v_fma_f32 v60, v98, v94, -v89
	s_delay_alu instid0(VALU_DEP_4) | instskip(SKIP_1) | instid1(VALU_DEP_4)
	v_add_f32_e32 v50, v50, v63
	v_mul_f32_e32 v51, v103, v107
	v_dual_fmac_f32 v79, v97, v92 :: v_dual_add_f32 v48, v48, v62
	v_dual_mul_f32 v93, v113, v109 :: v_dual_mul_f32 v6, v116, v6
	s_delay_alu instid0(VALU_DEP_4) | instskip(NEXT) | instid1(VALU_DEP_4)
	v_add_f32_e32 v50, v50, v65
	v_fma_f32 v51, v102, v106, -v51
	s_delay_alu instid0(VALU_DEP_4)
	v_add_f32_e32 v48, v48, v49
	v_fma_f32 v49, v100, v104, -v55
	v_fmac_f32_e32 v6, v117, v5
	v_add_f32_e32 v50, v50, v67
	v_fmac_f32_e32 v8, v119, v7
	v_dual_add_f32 v48, v48, v60 :: v_dual_fmac_f32 v57, v115, v110
	v_fmac_f32_e32 v56, v113, v108
	s_delay_alu instid0(VALU_DEP_4) | instskip(SKIP_3) | instid1(VALU_DEP_3)
	v_add_f32_e32 v50, v50, v54
	s_wait_dscnt 0x4
	v_mul_f32_e32 v54, v29, v25
	v_mul_f32_e32 v25, v28, v25
	v_add_f32_e32 v50, v50, v77
	s_delay_alu instid0(VALU_DEP_3) | instskip(NEXT) | instid1(VALU_DEP_2)
	v_fma_f32 v28, v28, v24, -v54
	v_dual_fmac_f32 v25, v29, v24 :: v_dual_add_f32 v50, v50, v79
	s_delay_alu instid0(VALU_DEP_1) | instskip(SKIP_3) | instid1(VALU_DEP_2)
	v_add_f32_e32 v50, v50, v52
	v_mul_f32_e32 v52, v31, v27
	v_dual_mul_f32 v27, v30, v27 :: v_dual_add_f32 v48, v48, v49
	v_fma_f32 v49, v112, v108, -v93
	v_dual_fmac_f32 v27, v31, v26 :: v_dual_add_f32 v48, v48, v51
	s_wait_dscnt 0x2
	v_dual_mul_f32 v51, v33, v37 :: v_dual_add_f32 v50, v50, v91
	v_mul_f32_e32 v37, v32, v37
	v_fma_f32 v24, v30, v26, -v52
	v_add_f32_e32 v48, v48, v49
	v_fma_f32 v49, v116, v5, -v59
	v_add_f32_e32 v50, v50, v53
	v_fma_f32 v53, v114, v110, -v58
	v_fmac_f32_e32 v37, v33, v36
	v_fma_f32 v26, v32, v36, -v51
	s_delay_alu instid0(VALU_DEP_4) | instskip(NEXT) | instid1(VALU_DEP_4)
	v_add_f32_e32 v50, v50, v56
	v_add_f32_e32 v48, v48, v53
	v_fma_f32 v53, v118, v7, -v61
	v_mul_f32_e32 v7, v34, v39
	s_delay_alu instid0(VALU_DEP_4) | instskip(NEXT) | instid1(VALU_DEP_2)
	v_add_f32_e32 v5, v50, v57
	v_fmac_f32_e32 v7, v35, v38
	s_delay_alu instid0(VALU_DEP_2) | instskip(NEXT) | instid1(VALU_DEP_1)
	v_add_f32_e32 v5, v5, v6
	v_dual_add_f32 v5, v5, v8 :: v_dual_mul_f32 v50, v35, v39
	s_wait_dscnt 0x0
	v_mul_f32_e32 v8, v45, v41
	s_delay_alu instid0(VALU_DEP_2) | instskip(SKIP_2) | instid1(VALU_DEP_4)
	v_add_f32_e32 v5, v5, v25
	v_add_f32_e32 v6, v48, v49
	v_mul_f32_e32 v25, v44, v41
	v_fma_f32 v8, v44, v40, -v8
	s_delay_alu instid0(VALU_DEP_3) | instskip(NEXT) | instid1(VALU_DEP_3)
	v_dual_add_f32 v5, v5, v27 :: v_dual_add_f32 v6, v6, v53
	v_fmac_f32_e32 v25, v45, v40
	v_fma_f32 v27, v34, v38, -v50
	s_delay_alu instid0(VALU_DEP_3) | instskip(NEXT) | instid1(VALU_DEP_1)
	v_dual_add_f32 v5, v5, v37 :: v_dual_add_f32 v6, v6, v28
	v_dual_add_f32 v5, v5, v7 :: v_dual_add_f32 v6, v6, v24
	s_delay_alu instid0(VALU_DEP_1) | instskip(NEXT) | instid1(VALU_DEP_2)
	v_dual_mul_f32 v24, v47, v43 :: v_dual_add_f32 v5, v5, v25
	v_add_f32_e32 v6, v6, v26
	v_mul_f32_e32 v26, v46, v43
	s_delay_alu instid0(VALU_DEP_3) | instskip(NEXT) | instid1(VALU_DEP_2)
	v_fma_f32 v7, v46, v42, -v24
	v_fmac_f32_e32 v26, v47, v42
	s_delay_alu instid0(VALU_DEP_1) | instskip(NEXT) | instid1(VALU_DEP_1)
	v_dual_add_f32 v6, v6, v27 :: v_dual_add_f32 v5, v5, v26
	v_add_f32_e32 v6, v6, v8
	s_delay_alu instid0(VALU_DEP_1) | instskip(NEXT) | instid1(VALU_DEP_1)
	v_dual_add_f32 v6, v6, v7 :: v_dual_mul_f32 v7, s5, v5
	v_mul_f32_e32 v8, s5, v6
	s_delay_alu instid0(VALU_DEP_2) | instskip(SKIP_1) | instid1(VALU_DEP_1)
	v_fma_f32 v6, s4, v6, -v7
	s_wait_loadcnt 0x0
	v_dual_fmac_f32 v8, s4, v5 :: v_dual_add_f32 v3, v3, v6
	s_delay_alu instid0(VALU_DEP_1)
	v_add_f32_e32 v4, v4, v8
	global_store_b64 v[1:2], v[3:4], off
	s_branch .LBB13_9
.LBB13_16:
	s_endpgm
	.section	.rodata,"a",@progbits
	.p2align	6, 0x0
	.amdhsa_kernel _ZL24rocblas_symm_hemm_kernelILb0ELb0ELi32EPK19rocblas_complex_numIfES3_PS1_EvbiiT2_T3_lllS6_lllT4_llli
		.amdhsa_group_segment_fixed_size 16384
		.amdhsa_private_segment_fixed_size 0
		.amdhsa_kernarg_size 384
		.amdhsa_user_sgpr_count 2
		.amdhsa_user_sgpr_dispatch_ptr 0
		.amdhsa_user_sgpr_queue_ptr 0
		.amdhsa_user_sgpr_kernarg_segment_ptr 1
		.amdhsa_user_sgpr_dispatch_id 0
		.amdhsa_user_sgpr_private_segment_size 0
		.amdhsa_wavefront_size32 1
		.amdhsa_uses_dynamic_stack 0
		.amdhsa_enable_private_segment 0
		.amdhsa_system_sgpr_workgroup_id_x 1
		.amdhsa_system_sgpr_workgroup_id_y 1
		.amdhsa_system_sgpr_workgroup_id_z 1
		.amdhsa_system_sgpr_workgroup_info 0
		.amdhsa_system_vgpr_workitem_id 1
		.amdhsa_next_free_vgpr 134
		.amdhsa_next_free_sgpr 42
		.amdhsa_reserve_vcc 1
		.amdhsa_float_round_mode_32 0
		.amdhsa_float_round_mode_16_64 0
		.amdhsa_float_denorm_mode_32 3
		.amdhsa_float_denorm_mode_16_64 3
		.amdhsa_fp16_overflow 0
		.amdhsa_workgroup_processor_mode 1
		.amdhsa_memory_ordered 1
		.amdhsa_forward_progress 1
		.amdhsa_inst_pref_size 19
		.amdhsa_round_robin_scheduling 0
		.amdhsa_exception_fp_ieee_invalid_op 0
		.amdhsa_exception_fp_denorm_src 0
		.amdhsa_exception_fp_ieee_div_zero 0
		.amdhsa_exception_fp_ieee_overflow 0
		.amdhsa_exception_fp_ieee_underflow 0
		.amdhsa_exception_fp_ieee_inexact 0
		.amdhsa_exception_int_div_zero 0
	.end_amdhsa_kernel
	.section	.text._ZL24rocblas_symm_hemm_kernelILb0ELb0ELi32EPK19rocblas_complex_numIfES3_PS1_EvbiiT2_T3_lllS6_lllT4_llli,"axG",@progbits,_ZL24rocblas_symm_hemm_kernelILb0ELb0ELi32EPK19rocblas_complex_numIfES3_PS1_EvbiiT2_T3_lllS6_lllT4_llli,comdat
.Lfunc_end13:
	.size	_ZL24rocblas_symm_hemm_kernelILb0ELb0ELi32EPK19rocblas_complex_numIfES3_PS1_EvbiiT2_T3_lllS6_lllT4_llli, .Lfunc_end13-_ZL24rocblas_symm_hemm_kernelILb0ELb0ELi32EPK19rocblas_complex_numIfES3_PS1_EvbiiT2_T3_lllS6_lllT4_llli
                                        ; -- End function
	.set _ZL24rocblas_symm_hemm_kernelILb0ELb0ELi32EPK19rocblas_complex_numIfES3_PS1_EvbiiT2_T3_lllS6_lllT4_llli.num_vgpr, 134
	.set _ZL24rocblas_symm_hemm_kernelILb0ELb0ELi32EPK19rocblas_complex_numIfES3_PS1_EvbiiT2_T3_lllS6_lllT4_llli.num_agpr, 0
	.set _ZL24rocblas_symm_hemm_kernelILb0ELb0ELi32EPK19rocblas_complex_numIfES3_PS1_EvbiiT2_T3_lllS6_lllT4_llli.numbered_sgpr, 42
	.set _ZL24rocblas_symm_hemm_kernelILb0ELb0ELi32EPK19rocblas_complex_numIfES3_PS1_EvbiiT2_T3_lllS6_lllT4_llli.num_named_barrier, 0
	.set _ZL24rocblas_symm_hemm_kernelILb0ELb0ELi32EPK19rocblas_complex_numIfES3_PS1_EvbiiT2_T3_lllS6_lllT4_llli.private_seg_size, 0
	.set _ZL24rocblas_symm_hemm_kernelILb0ELb0ELi32EPK19rocblas_complex_numIfES3_PS1_EvbiiT2_T3_lllS6_lllT4_llli.uses_vcc, 1
	.set _ZL24rocblas_symm_hemm_kernelILb0ELb0ELi32EPK19rocblas_complex_numIfES3_PS1_EvbiiT2_T3_lllS6_lllT4_llli.uses_flat_scratch, 0
	.set _ZL24rocblas_symm_hemm_kernelILb0ELb0ELi32EPK19rocblas_complex_numIfES3_PS1_EvbiiT2_T3_lllS6_lllT4_llli.has_dyn_sized_stack, 0
	.set _ZL24rocblas_symm_hemm_kernelILb0ELb0ELi32EPK19rocblas_complex_numIfES3_PS1_EvbiiT2_T3_lllS6_lllT4_llli.has_recursion, 0
	.set _ZL24rocblas_symm_hemm_kernelILb0ELb0ELi32EPK19rocblas_complex_numIfES3_PS1_EvbiiT2_T3_lllS6_lllT4_llli.has_indirect_call, 0
	.section	.AMDGPU.csdata,"",@progbits
; Kernel info:
; codeLenInByte = 2420
; TotalNumSgprs: 44
; NumVgprs: 134
; ScratchSize: 0
; MemoryBound: 0
; FloatMode: 240
; IeeeMode: 1
; LDSByteSize: 16384 bytes/workgroup (compile time only)
; SGPRBlocks: 0
; VGPRBlocks: 16
; NumSGPRsForWavesPerEU: 44
; NumVGPRsForWavesPerEU: 134
; Occupancy: 10
; WaveLimiterHint : 1
; COMPUTE_PGM_RSRC2:SCRATCH_EN: 0
; COMPUTE_PGM_RSRC2:USER_SGPR: 2
; COMPUTE_PGM_RSRC2:TRAP_HANDLER: 0
; COMPUTE_PGM_RSRC2:TGID_X_EN: 1
; COMPUTE_PGM_RSRC2:TGID_Y_EN: 1
; COMPUTE_PGM_RSRC2:TGID_Z_EN: 1
; COMPUTE_PGM_RSRC2:TIDIG_COMP_CNT: 1
	.section	.text._ZL24rocblas_symm_hemm_kernelILb0ELb1ELi32EPK19rocblas_complex_numIfES3_PS1_EvbiiT2_T3_lllS6_lllT4_llli,"axG",@progbits,_ZL24rocblas_symm_hemm_kernelILb0ELb1ELi32EPK19rocblas_complex_numIfES3_PS1_EvbiiT2_T3_lllS6_lllT4_llli,comdat
	.globl	_ZL24rocblas_symm_hemm_kernelILb0ELb1ELi32EPK19rocblas_complex_numIfES3_PS1_EvbiiT2_T3_lllS6_lllT4_llli ; -- Begin function _ZL24rocblas_symm_hemm_kernelILb0ELb1ELi32EPK19rocblas_complex_numIfES3_PS1_EvbiiT2_T3_lllS6_lllT4_llli
	.p2align	8
	.type	_ZL24rocblas_symm_hemm_kernelILb0ELb1ELi32EPK19rocblas_complex_numIfES3_PS1_EvbiiT2_T3_lllS6_lllT4_llli,@function
_ZL24rocblas_symm_hemm_kernelILb0ELb1ELi32EPK19rocblas_complex_numIfES3_PS1_EvbiiT2_T3_lllS6_lllT4_llli: ; @_ZL24rocblas_symm_hemm_kernelILb0ELb1ELi32EPK19rocblas_complex_numIfES3_PS1_EvbiiT2_T3_lllS6_lllT4_llli
; %bb.0:
	s_load_b512 s[4:19], s[0:1], 0x10
	s_wait_kmcnt 0x0
	s_load_b64 s[4:5], s[4:5], 0x0
	s_wait_kmcnt 0x0
	s_cmp_eq_f32 s4, 0
	s_cselect_b32 s2, -1, 0
	s_cmp_eq_f32 s5, 0
	s_cselect_b32 s3, -1, 0
	s_delay_alu instid0(SALU_CYCLE_1) | instskip(NEXT) | instid1(SALU_CYCLE_1)
	s_and_b32 s2, s2, s3
	s_and_b32 vcc_lo, exec_lo, s2
	s_cbranch_vccnz .LBB14_16
; %bb.1:
	s_load_b32 s31, s[0:1], 0x78
	s_lshr_b32 s34, ttmp7, 16
	s_wait_kmcnt 0x0
	s_cmp_ge_u32 s34, s31
	s_cbranch_scc1 .LBB14_16
; %bb.2:
	s_clause 0x1
	s_load_b96 s[28:30], s[0:1], 0x0
	s_load_b256 s[20:27], s[0:1], 0x50
	v_and_b32_e32 v8, 0x3ff, v0
	v_bfe_u32 v9, v0, 10, 10
	s_lshl_b64 s[36:37], s[8:9], 3
	s_load_b64 s[8:9], s[0:1], 0x70
	s_add_nc_u64 s[6:7], s[6:7], s[36:37]
	v_lshl_add_u32 v0, ttmp9, 5, v8
	v_lshlrev_b32_e32 v2, 3, v9
	v_lshlrev_b32_e32 v10, 8, v8
	s_delay_alu instid0(VALU_DEP_3) | instskip(NEXT) | instid1(VALU_DEP_3)
	v_ashrrev_i32_e32 v1, 31, v0
	v_or_b32_e32 v11, 0x2000, v2
	s_delay_alu instid0(VALU_DEP_3) | instskip(NEXT) | instid1(VALU_DEP_3)
	v_add_nc_u32_e32 v12, v10, v2
	v_lshlrev_b64_e32 v[1:2], 3, v[0:1]
	s_delay_alu instid0(VALU_DEP_3)
	v_add_nc_u32_e32 v13, v11, v10
	v_add_nc_u32_e32 v18, 0x800, v11
	s_wait_kmcnt 0x0
	s_bitcmp1_b32 s28, 0
	v_cmp_gt_i32_e64 s2, s29, v0
	s_cselect_b32 s3, -1, 0
	s_add_co_i32 s33, s30, -1
	s_lshl_b64 s[16:17], s[16:17], 3
	s_ashr_i32 s35, s33, 31
	s_lshl_b64 s[28:29], s[24:25], 3
	s_lshr_b32 s25, s35, 27
	s_add_nc_u64 s[14:15], s[14:15], s[16:17]
	s_add_co_i32 s33, s33, s25
	s_wait_alu 0xfffe
	s_add_nc_u64 s[16:17], s[22:23], s[28:29]
	v_add_co_u32 v14, vcc_lo, s14, v1
	s_and_b32 s24, ttmp7, 0xffff
	s_ashr_i32 s25, s33, 5
	v_add_co_ci_u32_e64 v15, null, s15, v2, vcc_lo
	v_add_co_u32 v16, vcc_lo, s16, v1
	s_cmp_le_i32 s24, s25
	s_wait_alu 0xfffd
	v_add_co_ci_u32_e64 v17, null, s17, v2, vcc_lo
	v_add_nc_u32_e32 v19, 0x1000, v11
	v_add_nc_u32_e32 v20, 0x1800, v11
	s_cselect_b32 s22, -1, 0
	s_cmp_gt_i32 s30, 0
	s_mov_b32 s35, 0
	s_cselect_b32 s23, -1, 0
	s_add_nc_u64 s[14:15], s[0:1], 0x80
	s_branch .LBB14_4
.LBB14_3:                               ;   in Loop: Header=BB14_4 Depth=1
	s_add_co_i32 s34, s34, 0x10000
	s_delay_alu instid0(SALU_CYCLE_1)
	s_cmp_lt_u32 s34, s31
	s_cbranch_scc0 .LBB14_16
.LBB14_4:                               ; =>This Loop Header: Depth=1
                                        ;     Child Loop BB14_7 Depth 2
                                        ;       Child Loop BB14_10 Depth 3
	s_and_not1_b32 vcc_lo, exec_lo, s22
	s_wait_alu 0xfffe
	s_cbranch_vccnz .LBB14_3
; %bb.5:                                ;   in Loop: Header=BB14_4 Depth=1
	s_load_b32 s1, s[14:15], 0x4
	s_mul_u64 s[28:29], s[20:21], s[34:35]
	s_mul_u64 s[36:37], s[8:9], s[34:35]
	s_wait_alu 0xfffe
	s_lshl_b64 s[28:29], s[28:29], 3
	s_mul_u64 s[16:17], s[12:13], s[34:35]
	s_wait_alu 0xfffe
	v_add_co_u32 v21, vcc_lo, v14, s28
	s_wait_alu 0xfffd
	v_add_co_ci_u32_e64 v22, null, s29, v15, vcc_lo
	s_lshl_b64 s[28:29], s[36:37], 3
	s_lshl_b64 s[16:17], s[16:17], 3
	s_wait_alu 0xfffe
	v_add_co_u32 v23, vcc_lo, v16, s28
	s_wait_alu 0xfffd
	v_add_co_ci_u32_e64 v24, null, s29, v17, vcc_lo
	s_add_nc_u64 s[16:17], s[6:7], s[16:17]
	s_mov_b32 s28, s24
	s_branch .LBB14_7
.LBB14_6:                               ;   in Loop: Header=BB14_7 Depth=2
	s_wait_kmcnt 0x0
	s_add_co_i32 s28, s28, s1
	s_wait_alu 0xfffe
	s_cmp_gt_i32 s28, s25
	s_cbranch_scc1 .LBB14_3
.LBB14_7:                               ;   Parent Loop BB14_4 Depth=1
                                        ; =>  This Loop Header: Depth=2
                                        ;       Child Loop BB14_10 Depth 3
	s_and_not1_b32 vcc_lo, exec_lo, s23
	s_wait_alu 0xfffe
	s_cbranch_vccnz .LBB14_6
; %bb.8:                                ;   in Loop: Header=BB14_7 Depth=2
	v_lshl_add_u32 v25, s28, 5, v9
	s_mov_b32 s29, 0
	s_delay_alu instid0(VALU_DEP_1) | instskip(SKIP_3) | instid1(VALU_DEP_4)
	v_ashrrev_i32_e32 v2, 31, v25
	v_mul_lo_u32 v3, s27, v25
	v_mad_co_u64_u32 v[0:1], null, s26, v25, 0
	v_cmp_gt_i32_e32 vcc_lo, s30, v25
	v_mul_lo_u32 v2, s26, v2
	s_delay_alu instid0(VALU_DEP_1) | instskip(NEXT) | instid1(VALU_DEP_1)
	v_add3_u32 v1, v1, v2, v3
	v_lshlrev_b64_e32 v[0:1], 3, v[0:1]
	s_delay_alu instid0(VALU_DEP_1) | instskip(SKIP_1) | instid1(VALU_DEP_2)
	v_add_co_u32 v0, s0, v23, v0
	s_wait_alu 0xf1ff
	v_add_co_ci_u32_e64 v1, null, v24, v1, s0
	s_and_b32 s0, s2, vcc_lo
	s_branch .LBB14_10
.LBB14_9:                               ;   in Loop: Header=BB14_10 Depth=3
	s_or_b32 exec_lo, exec_lo, s33
	s_add_co_i32 s29, s29, 32
	s_wait_loadcnt 0x0
	s_wait_storecnt 0x0
	s_wait_alu 0xfffe
	s_cmp_ge_i32 s29, s30
	s_barrier_signal -1
	s_barrier_wait -1
	global_inv scope:SCOPE_SE
	s_cbranch_scc1 .LBB14_6
.LBB14_10:                              ;   Parent Loop BB14_4 Depth=1
                                        ;     Parent Loop BB14_7 Depth=2
                                        ; =>    This Inner Loop Header: Depth=3
	s_wait_alu 0xfffe
	v_dual_mov_b32 v2, 0 :: v_dual_add_nc_u32 v3, s29, v9
	v_dual_mov_b32 v4, 0 :: v_dual_mov_b32 v5, 0
	s_delay_alu instid0(VALU_DEP_2) | instskip(SKIP_1) | instid1(SALU_CYCLE_1)
	v_cmp_gt_i32_e32 vcc_lo, s30, v3
	s_and_b32 s36, s2, vcc_lo
	s_and_saveexec_b32 s33, s36
	s_cbranch_execz .LBB14_12
; %bb.11:                               ;   in Loop: Header=BB14_10 Depth=3
	v_ashrrev_i32_e32 v5, 31, v3
	v_mul_lo_u32 v6, s19, v3
	v_mad_co_u64_u32 v[3:4], null, s18, v3, 0
	s_delay_alu instid0(VALU_DEP_3) | instskip(NEXT) | instid1(VALU_DEP_1)
	v_mul_lo_u32 v5, s18, v5
	v_add3_u32 v4, v4, v5, v6
	s_delay_alu instid0(VALU_DEP_1) | instskip(NEXT) | instid1(VALU_DEP_1)
	v_lshlrev_b64_e32 v[3:4], 3, v[3:4]
	v_add_co_u32 v3, vcc_lo, v21, v3
	s_wait_alu 0xfffd
	s_delay_alu instid0(VALU_DEP_2)
	v_add_co_ci_u32_e64 v4, null, v22, v4, vcc_lo
	global_load_b64 v[4:5], v[3:4], off
.LBB14_12:                              ;   in Loop: Header=BB14_10 Depth=3
	s_or_b32 exec_lo, exec_lo, s33
	v_add_nc_u32_e32 v3, s29, v8
	s_wait_loadcnt 0x0
	ds_store_b64 v12, v[4:5]
	v_cndmask_b32_e64 v6, v25, v3, s3
	v_cndmask_b32_e64 v7, v3, v25, s3
	s_delay_alu instid0(VALU_DEP_1) | instskip(SKIP_2) | instid1(VALU_DEP_1)
	v_cmp_gt_i32_e32 vcc_lo, v6, v7
	s_wait_alu 0xfffd
	v_dual_cndmask_b32 v6, v3, v25 :: v_dual_cndmask_b32 v7, v25, v3
	v_max_i32_e32 v3, v6, v7
	s_delay_alu instid0(VALU_DEP_1)
	v_cmp_gt_i32_e32 vcc_lo, s30, v3
	v_mov_b32_e32 v3, 0
	s_and_saveexec_b32 s33, vcc_lo
	s_cbranch_execz .LBB14_14
; %bb.13:                               ;   in Loop: Header=BB14_10 Depth=3
	v_ashrrev_i32_e32 v4, 31, v7
	v_mul_lo_u32 v5, s11, v7
	v_mad_co_u64_u32 v[2:3], null, s10, v7, 0
	v_ashrrev_i32_e32 v7, 31, v6
	s_delay_alu instid0(VALU_DEP_4) | instskip(NEXT) | instid1(VALU_DEP_1)
	v_mul_lo_u32 v4, s10, v4
	v_add3_u32 v3, v3, v4, v5
	s_delay_alu instid0(VALU_DEP_3) | instskip(NEXT) | instid1(VALU_DEP_2)
	v_lshlrev_b64_e32 v[4:5], 3, v[6:7]
	v_lshlrev_b64_e32 v[2:3], 3, v[2:3]
	s_delay_alu instid0(VALU_DEP_1) | instskip(SKIP_1) | instid1(VALU_DEP_2)
	v_add_co_u32 v2, vcc_lo, s16, v2
	s_wait_alu 0xfffd
	v_add_co_ci_u32_e64 v3, null, s17, v3, vcc_lo
	s_delay_alu instid0(VALU_DEP_2) | instskip(SKIP_1) | instid1(VALU_DEP_2)
	v_add_co_u32 v2, vcc_lo, v2, v4
	s_wait_alu 0xfffd
	v_add_co_ci_u32_e64 v3, null, v3, v5, vcc_lo
	global_load_b64 v[2:3], v[2:3], off
.LBB14_14:                              ;   in Loop: Header=BB14_10 Depth=3
	s_or_b32 exec_lo, exec_lo, s33
	s_wait_loadcnt 0x0
	ds_store_b64 v13, v[2:3]
	s_wait_dscnt 0x0
	s_barrier_signal -1
	s_barrier_wait -1
	global_inv scope:SCOPE_SE
	s_and_saveexec_b32 s33, s0
	s_cbranch_execz .LBB14_9
; %bb.15:                               ;   in Loop: Header=BB14_10 Depth=3
	global_load_b64 v[2:3], v[0:1], off
	ds_load_2addr_b64 v[4:7], v11 offset1:32
	ds_load_b128 v[26:29], v10
	ds_load_b128 v[30:33], v10 offset:16
	ds_load_b128 v[34:37], v10 offset:32
	;; [unrolled: 1-line block ×3, first 2 shown]
	ds_load_2addr_b64 v[42:45], v11 offset0:64 offset1:96
	ds_load_2addr_b64 v[46:49], v11 offset0:128 offset1:160
	;; [unrolled: 1-line block ×3, first 2 shown]
	ds_load_2addr_b64 v[54:57], v18 offset1:32
	ds_load_b128 v[58:61], v10 offset:64
	ds_load_b128 v[62:65], v10 offset:80
	ds_load_2addr_b64 v[66:69], v18 offset0:64 offset1:96
	ds_load_2addr_b64 v[70:73], v18 offset0:128 offset1:160
	ds_load_b128 v[74:77], v10 offset:96
	ds_load_b128 v[78:81], v10 offset:112
	ds_load_2addr_b64 v[82:85], v18 offset0:192 offset1:224
	ds_load_2addr_b64 v[86:89], v19 offset1:32
	ds_load_b128 v[90:93], v10 offset:128
	ds_load_b128 v[94:97], v10 offset:144
	ds_load_2addr_b64 v[98:101], v19 offset0:64 offset1:96
	ds_load_2addr_b64 v[102:105], v19 offset0:128 offset1:160
	ds_load_b128 v[106:109], v10 offset:160
	ds_load_b128 v[110:113], v10 offset:176
	ds_load_2addr_b64 v[114:117], v19 offset0:192 offset1:224
	ds_load_2addr_b64 v[118:121], v20 offset1:32
	s_wait_dscnt 0x17
	v_mul_f32_e32 v122, v5, v27
	v_dual_mul_f32 v123, v4, v27 :: v_dual_mul_f32 v124, v6, v29
	v_mul_f32_e32 v27, v7, v29
	s_wait_dscnt 0x13
	v_mul_f32_e32 v29, v43, v31
	v_mul_f32_e32 v125, v42, v31
	s_wait_dscnt 0x12
	v_dual_mul_f32 v31, v45, v33 :: v_dual_mul_f32 v128, v46, v35
	v_mul_f32_e32 v127, v44, v33
	v_mul_f32_e32 v33, v47, v35
	s_wait_dscnt 0x11
	v_dual_mul_f32 v35, v49, v37 :: v_dual_mul_f32 v134, v50, v39
	v_fma_f32 v126, v6, v28, -v27
	v_dual_fmac_f32 v123, v5, v26 :: v_dual_fmac_f32 v124, v7, v28
	s_delay_alu instid0(VALU_DEP_3)
	v_fma_f32 v133, v48, v36, -v35
	v_mul_f32_e32 v35, v53, v41
	v_dual_mul_f32 v129, v48, v37 :: v_dual_fmac_f32 v134, v51, v38
	v_fmac_f32_e32 v125, v43, v30
	v_fma_f32 v132, v46, v34, -v33
	v_fmac_f32_e32 v128, v47, v34
	v_dual_mul_f32 v34, v51, v39 :: v_dual_mul_f32 v135, v52, v41
	s_wait_dscnt 0xf
	v_mul_f32_e32 v39, v55, v59
	v_fma_f32 v51, v52, v40, -v35
	v_mul_f32_e32 v52, v54, v59
	v_fma_f32 v122, v4, v26, -v122
	v_fma_f32 v131, v44, v32, -v31
	v_fmac_f32_e32 v129, v49, v36
	v_fma_f32 v50, v50, v38, -v34
	v_mul_f32_e32 v38, v57, v61
	v_fma_f32 v54, v54, v58, -v39
	v_fmac_f32_e32 v52, v55, v58
	s_wait_dscnt 0xd
	v_dual_mul_f32 v58, v67, v63 :: v_dual_fmac_f32 v135, v53, v40
	v_mul_f32_e32 v53, v56, v61
	v_mul_f32_e32 v59, v66, v63
	v_add_f32_e32 v39, 0, v122
	v_fma_f32 v55, v56, v60, -v38
	v_mul_f32_e32 v61, v68, v65
	v_fma_f32 v58, v66, v62, -v58
	s_wait_dscnt 0xb
	v_dual_fmac_f32 v59, v67, v62 :: v_dual_mul_f32 v62, v70, v75
	s_wait_dscnt 0x9
	v_dual_fmac_f32 v53, v57, v60 :: v_dual_mul_f32 v66, v83, v79
	v_mul_f32_e32 v60, v69, v65
	v_fma_f32 v130, v42, v30, -v29
	v_fmac_f32_e32 v61, v69, v64
	v_dual_fmac_f32 v127, v45, v32 :: v_dual_add_f32 v40, 0, v123
	s_delay_alu instid0(VALU_DEP_4) | instskip(SKIP_2) | instid1(VALU_DEP_4)
	v_fma_f32 v60, v68, v64, -v60
	v_mul_f32_e32 v64, v73, v77
	v_add_f32_e32 v56, v39, v126
	v_dual_mul_f32 v68, v85, v81 :: v_dual_add_f32 v57, v40, v124
	ds_load_b128 v[4:7], v10 offset:192
	ds_load_b128 v[26:29], v10 offset:208
	ds_load_2addr_b64 v[30:33], v20 offset0:64 offset1:96
	v_add_f32_e32 v56, v56, v130
	ds_load_2addr_b64 v[34:37], v20 offset0:128 offset1:160
	v_fmac_f32_e32 v62, v71, v74
	ds_load_b128 v[38:41], v10 offset:224
	ds_load_b128 v[42:45], v10 offset:240
	ds_load_2addr_b64 v[46:49], v20 offset0:192 offset1:224
	v_dual_add_f32 v56, v56, v131 :: v_dual_add_f32 v57, v57, v125
	s_delay_alu instid0(VALU_DEP_1) | instskip(NEXT) | instid1(VALU_DEP_1)
	v_add_f32_e32 v56, v56, v132
	v_dual_add_f32 v56, v56, v133 :: v_dual_add_f32 v57, v57, v127
	s_delay_alu instid0(VALU_DEP_1) | instskip(SKIP_2) | instid1(VALU_DEP_2)
	v_dual_add_f32 v50, v56, v50 :: v_dual_add_f32 v57, v57, v128
	s_wait_dscnt 0xe
	v_mul_f32_e32 v56, v86, v91
	v_add_f32_e32 v50, v50, v51
	s_wait_dscnt 0xc
	v_mul_f32_e32 v51, v99, v95
	s_delay_alu instid0(VALU_DEP_3) | instskip(NEXT) | instid1(VALU_DEP_3)
	v_fmac_f32_e32 v56, v87, v90
	v_add_f32_e32 v50, v50, v54
	v_mul_f32_e32 v54, v100, v97
	v_add_f32_e32 v57, v57, v129
	v_mul_f32_e32 v65, v72, v77
	s_delay_alu instid0(VALU_DEP_4) | instskip(SKIP_1) | instid1(VALU_DEP_4)
	v_dual_mul_f32 v77, v89, v93 :: v_dual_add_f32 v50, v50, v55
	v_mul_f32_e32 v69, v84, v81
	v_add_f32_e32 v57, v57, v134
	v_fmac_f32_e32 v54, v101, v96
	s_delay_alu instid0(VALU_DEP_4)
	v_add_f32_e32 v50, v50, v58
	s_wait_dscnt 0x8
	v_mul_f32_e32 v58, v114, v111
	v_add_f32_e32 v57, v57, v135
	v_mul_f32_e32 v63, v71, v75
	v_fmac_f32_e32 v69, v85, v80
	v_add_f32_e32 v50, v50, v60
	v_mul_f32_e32 v60, v117, v113
	v_dual_add_f32 v52, v57, v52 :: v_dual_mul_f32 v67, v82, v79
	v_mul_f32_e32 v79, v88, v93
	v_mul_f32_e32 v93, v102, v107
	v_fma_f32 v51, v98, v94, -v51
	s_delay_alu instid0(VALU_DEP_4) | instskip(NEXT) | instid1(VALU_DEP_1)
	v_dual_add_f32 v52, v52, v53 :: v_dual_fmac_f32 v67, v83, v78
	v_dual_fmac_f32 v93, v103, v106 :: v_dual_add_f32 v52, v52, v59
	v_fma_f32 v59, v70, v74, -v63
	v_mul_f32_e32 v75, v87, v91
	v_mul_f32_e32 v91, v101, v97
	v_fma_f32 v63, v84, v80, -v68
	v_add_f32_e32 v52, v52, v61
	v_fma_f32 v61, v72, v76, -v64
	v_add_f32_e32 v50, v50, v59
	v_mul_f32_e32 v57, v103, v107
	v_fma_f32 v64, v88, v92, -v77
	v_add_f32_e32 v52, v52, v62
	v_fma_f32 v62, v82, v78, -v66
	v_add_f32_e32 v50, v50, v61
	s_delay_alu instid0(VALU_DEP_1) | instskip(SKIP_2) | instid1(VALU_DEP_3)
	v_dual_mul_f32 v55, v104, v109 :: v_dual_add_f32 v50, v50, v62
	v_fmac_f32_e32 v65, v73, v76
	v_fma_f32 v62, v86, v90, -v75
	v_add_f32_e32 v50, v50, v63
	s_delay_alu instid0(VALU_DEP_3) | instskip(SKIP_1) | instid1(VALU_DEP_3)
	v_dual_mul_f32 v81, v98, v95 :: v_dual_add_f32 v52, v52, v65
	v_mul_f32_e32 v53, v105, v109
	v_dual_mul_f32 v59, v116, v113 :: v_dual_add_f32 v50, v50, v62
	s_wait_dscnt 0x6
	v_mul_f32_e32 v63, v121, v7
	v_add_f32_e32 v52, v52, v67
	v_mul_f32_e32 v95, v115, v111
	v_fma_f32 v62, v100, v96, -v91
	v_dual_add_f32 v50, v50, v64 :: v_dual_fmac_f32 v81, v99, v94
	s_delay_alu instid0(VALU_DEP_4) | instskip(SKIP_2) | instid1(VALU_DEP_4)
	v_add_f32_e32 v52, v52, v69
	v_fma_f32 v53, v104, v108, -v53
	v_dual_fmac_f32 v58, v115, v110 :: v_dual_fmac_f32 v59, v117, v112
	v_dual_add_f32 v50, v50, v51 :: v_dual_fmac_f32 v79, v89, v92
	s_delay_alu instid0(VALU_DEP_4) | instskip(SKIP_1) | instid1(VALU_DEP_3)
	v_dual_add_f32 v52, v52, v56 :: v_dual_mul_f32 v61, v119, v5
	v_mul_f32_e32 v5, v118, v5
	v_dual_mul_f32 v7, v120, v7 :: v_dual_add_f32 v50, v50, v62
	s_delay_alu instid0(VALU_DEP_3)
	v_add_f32_e32 v52, v52, v79
	s_wait_dscnt 0x4
	v_mul_f32_e32 v56, v31, v27
	v_fma_f32 v51, v102, v106, -v57
	v_fmac_f32_e32 v5, v119, v4
	v_dual_fmac_f32 v7, v121, v6 :: v_dual_add_f32 v52, v52, v81
	v_mul_f32_e32 v27, v30, v27
	s_delay_alu instid0(VALU_DEP_4)
	v_add_f32_e32 v50, v50, v51
	v_fma_f32 v51, v114, v110, -v95
	v_fma_f32 v30, v30, v26, -v56
	v_add_f32_e32 v52, v52, v54
	v_mul_f32_e32 v54, v33, v29
	v_fmac_f32_e32 v55, v105, v108
	v_mul_f32_e32 v29, v32, v29
	s_wait_dscnt 0x2
	v_dual_add_f32 v50, v50, v53 :: v_dual_mul_f32 v53, v35, v39
	v_dual_add_f32 v52, v52, v93 :: v_dual_mul_f32 v39, v34, v39
	s_delay_alu instid0(VALU_DEP_2) | instskip(SKIP_1) | instid1(VALU_DEP_3)
	v_dual_fmac_f32 v27, v31, v26 :: v_dual_add_f32 v50, v50, v51
	v_fma_f32 v51, v118, v4, -v61
	v_add_f32_e32 v52, v52, v55
	v_fma_f32 v55, v116, v112, -v60
	v_fmac_f32_e32 v29, v33, v28
	v_fma_f32 v26, v32, v28, -v54
	v_fma_f32 v28, v34, v38, -v53
	v_add_f32_e32 v52, v52, v58
	v_add_f32_e32 v50, v50, v55
	v_fma_f32 v55, v120, v6, -v63
	v_dual_mul_f32 v6, v36, v41 :: v_dual_fmac_f32 v39, v35, v38
	s_delay_alu instid0(VALU_DEP_4) | instskip(SKIP_1) | instid1(VALU_DEP_2)
	v_add_f32_e32 v4, v52, v59
	v_mul_f32_e32 v52, v37, v41
	v_dual_add_f32 v4, v4, v5 :: v_dual_add_f32 v5, v50, v51
	s_delay_alu instid0(VALU_DEP_1) | instskip(NEXT) | instid1(VALU_DEP_2)
	v_add_f32_e32 v5, v5, v55
	v_add_f32_e32 v4, v4, v7
	s_wait_dscnt 0x0
	v_dual_mul_f32 v7, v47, v43 :: v_dual_fmac_f32 v6, v37, v40
	s_delay_alu instid0(VALU_DEP_2) | instskip(SKIP_1) | instid1(VALU_DEP_3)
	v_dual_add_f32 v5, v5, v30 :: v_dual_add_f32 v4, v4, v27
	v_mul_f32_e32 v27, v46, v43
	v_fma_f32 v7, v46, v42, -v7
	s_delay_alu instid0(VALU_DEP_3) | instskip(SKIP_1) | instid1(VALU_DEP_4)
	v_dual_add_f32 v4, v4, v29 :: v_dual_add_f32 v5, v5, v26
	v_fma_f32 v29, v36, v40, -v52
	v_dual_mul_f32 v26, v49, v45 :: v_dual_fmac_f32 v27, v47, v42
	s_delay_alu instid0(VALU_DEP_3) | instskip(SKIP_1) | instid1(VALU_DEP_2)
	v_dual_add_f32 v4, v4, v39 :: v_dual_add_f32 v5, v5, v28
	v_mul_f32_e32 v28, v48, v45
	v_dual_add_f32 v4, v4, v6 :: v_dual_add_f32 v5, v5, v29
	s_delay_alu instid0(VALU_DEP_4) | instskip(NEXT) | instid1(VALU_DEP_3)
	v_fma_f32 v6, v48, v44, -v26
	v_fmac_f32_e32 v28, v49, v44
	s_delay_alu instid0(VALU_DEP_3) | instskip(NEXT) | instid1(VALU_DEP_1)
	v_add_f32_e32 v5, v5, v7
	v_dual_add_f32 v4, v4, v27 :: v_dual_add_f32 v5, v5, v6
	s_delay_alu instid0(VALU_DEP_1) | instskip(NEXT) | instid1(VALU_DEP_1)
	v_dual_add_f32 v4, v4, v28 :: v_dual_mul_f32 v7, s5, v5
	v_mul_f32_e32 v6, s5, v4
	s_delay_alu instid0(VALU_DEP_1) | instskip(SKIP_1) | instid1(VALU_DEP_1)
	v_fma_f32 v5, s4, v5, -v6
	s_wait_loadcnt 0x0
	v_dual_fmac_f32 v7, s4, v4 :: v_dual_add_f32 v2, v2, v5
	s_delay_alu instid0(VALU_DEP_1)
	v_add_f32_e32 v3, v3, v7
	global_store_b64 v[0:1], v[2:3], off
	s_branch .LBB14_9
.LBB14_16:
	s_endpgm
	.section	.rodata,"a",@progbits
	.p2align	6, 0x0
	.amdhsa_kernel _ZL24rocblas_symm_hemm_kernelILb0ELb1ELi32EPK19rocblas_complex_numIfES3_PS1_EvbiiT2_T3_lllS6_lllT4_llli
		.amdhsa_group_segment_fixed_size 16384
		.amdhsa_private_segment_fixed_size 0
		.amdhsa_kernarg_size 384
		.amdhsa_user_sgpr_count 2
		.amdhsa_user_sgpr_dispatch_ptr 0
		.amdhsa_user_sgpr_queue_ptr 0
		.amdhsa_user_sgpr_kernarg_segment_ptr 1
		.amdhsa_user_sgpr_dispatch_id 0
		.amdhsa_user_sgpr_private_segment_size 0
		.amdhsa_wavefront_size32 1
		.amdhsa_uses_dynamic_stack 0
		.amdhsa_enable_private_segment 0
		.amdhsa_system_sgpr_workgroup_id_x 1
		.amdhsa_system_sgpr_workgroup_id_y 1
		.amdhsa_system_sgpr_workgroup_id_z 1
		.amdhsa_system_sgpr_workgroup_info 0
		.amdhsa_system_vgpr_workitem_id 1
		.amdhsa_next_free_vgpr 136
		.amdhsa_next_free_sgpr 38
		.amdhsa_reserve_vcc 1
		.amdhsa_float_round_mode_32 0
		.amdhsa_float_round_mode_16_64 0
		.amdhsa_float_denorm_mode_32 3
		.amdhsa_float_denorm_mode_16_64 3
		.amdhsa_fp16_overflow 0
		.amdhsa_workgroup_processor_mode 1
		.amdhsa_memory_ordered 1
		.amdhsa_forward_progress 1
		.amdhsa_inst_pref_size 19
		.amdhsa_round_robin_scheduling 0
		.amdhsa_exception_fp_ieee_invalid_op 0
		.amdhsa_exception_fp_denorm_src 0
		.amdhsa_exception_fp_ieee_div_zero 0
		.amdhsa_exception_fp_ieee_overflow 0
		.amdhsa_exception_fp_ieee_underflow 0
		.amdhsa_exception_fp_ieee_inexact 0
		.amdhsa_exception_int_div_zero 0
	.end_amdhsa_kernel
	.section	.text._ZL24rocblas_symm_hemm_kernelILb0ELb1ELi32EPK19rocblas_complex_numIfES3_PS1_EvbiiT2_T3_lllS6_lllT4_llli,"axG",@progbits,_ZL24rocblas_symm_hemm_kernelILb0ELb1ELi32EPK19rocblas_complex_numIfES3_PS1_EvbiiT2_T3_lllS6_lllT4_llli,comdat
.Lfunc_end14:
	.size	_ZL24rocblas_symm_hemm_kernelILb0ELb1ELi32EPK19rocblas_complex_numIfES3_PS1_EvbiiT2_T3_lllS6_lllT4_llli, .Lfunc_end14-_ZL24rocblas_symm_hemm_kernelILb0ELb1ELi32EPK19rocblas_complex_numIfES3_PS1_EvbiiT2_T3_lllS6_lllT4_llli
                                        ; -- End function
	.set _ZL24rocblas_symm_hemm_kernelILb0ELb1ELi32EPK19rocblas_complex_numIfES3_PS1_EvbiiT2_T3_lllS6_lllT4_llli.num_vgpr, 136
	.set _ZL24rocblas_symm_hemm_kernelILb0ELb1ELi32EPK19rocblas_complex_numIfES3_PS1_EvbiiT2_T3_lllS6_lllT4_llli.num_agpr, 0
	.set _ZL24rocblas_symm_hemm_kernelILb0ELb1ELi32EPK19rocblas_complex_numIfES3_PS1_EvbiiT2_T3_lllS6_lllT4_llli.numbered_sgpr, 38
	.set _ZL24rocblas_symm_hemm_kernelILb0ELb1ELi32EPK19rocblas_complex_numIfES3_PS1_EvbiiT2_T3_lllS6_lllT4_llli.num_named_barrier, 0
	.set _ZL24rocblas_symm_hemm_kernelILb0ELb1ELi32EPK19rocblas_complex_numIfES3_PS1_EvbiiT2_T3_lllS6_lllT4_llli.private_seg_size, 0
	.set _ZL24rocblas_symm_hemm_kernelILb0ELb1ELi32EPK19rocblas_complex_numIfES3_PS1_EvbiiT2_T3_lllS6_lllT4_llli.uses_vcc, 1
	.set _ZL24rocblas_symm_hemm_kernelILb0ELb1ELi32EPK19rocblas_complex_numIfES3_PS1_EvbiiT2_T3_lllS6_lllT4_llli.uses_flat_scratch, 0
	.set _ZL24rocblas_symm_hemm_kernelILb0ELb1ELi32EPK19rocblas_complex_numIfES3_PS1_EvbiiT2_T3_lllS6_lllT4_llli.has_dyn_sized_stack, 0
	.set _ZL24rocblas_symm_hemm_kernelILb0ELb1ELi32EPK19rocblas_complex_numIfES3_PS1_EvbiiT2_T3_lllS6_lllT4_llli.has_recursion, 0
	.set _ZL24rocblas_symm_hemm_kernelILb0ELb1ELi32EPK19rocblas_complex_numIfES3_PS1_EvbiiT2_T3_lllS6_lllT4_llli.has_indirect_call, 0
	.section	.AMDGPU.csdata,"",@progbits
; Kernel info:
; codeLenInByte = 2392
; TotalNumSgprs: 40
; NumVgprs: 136
; ScratchSize: 0
; MemoryBound: 0
; FloatMode: 240
; IeeeMode: 1
; LDSByteSize: 16384 bytes/workgroup (compile time only)
; SGPRBlocks: 0
; VGPRBlocks: 16
; NumSGPRsForWavesPerEU: 40
; NumVGPRsForWavesPerEU: 136
; Occupancy: 10
; WaveLimiterHint : 1
; COMPUTE_PGM_RSRC2:SCRATCH_EN: 0
; COMPUTE_PGM_RSRC2:USER_SGPR: 2
; COMPUTE_PGM_RSRC2:TRAP_HANDLER: 0
; COMPUTE_PGM_RSRC2:TGID_X_EN: 1
; COMPUTE_PGM_RSRC2:TGID_Y_EN: 1
; COMPUTE_PGM_RSRC2:TGID_Z_EN: 1
; COMPUTE_PGM_RSRC2:TIDIG_COMP_CNT: 1
	.section	.text._ZL25rocblas_symm_scale_kernelILi128ELi8E19rocblas_complex_numIfEPS1_EviiT1_T2_llli,"axG",@progbits,_ZL25rocblas_symm_scale_kernelILi128ELi8E19rocblas_complex_numIfEPS1_EviiT1_T2_llli,comdat
	.globl	_ZL25rocblas_symm_scale_kernelILi128ELi8E19rocblas_complex_numIfEPS1_EviiT1_T2_llli ; -- Begin function _ZL25rocblas_symm_scale_kernelILi128ELi8E19rocblas_complex_numIfEPS1_EviiT1_T2_llli
	.p2align	8
	.type	_ZL25rocblas_symm_scale_kernelILi128ELi8E19rocblas_complex_numIfEPS1_EviiT1_T2_llli,@function
_ZL25rocblas_symm_scale_kernelILi128ELi8E19rocblas_complex_numIfEPS1_EviiT1_T2_llli: ; @_ZL25rocblas_symm_scale_kernelILi128ELi8E19rocblas_complex_numIfEPS1_EviiT1_T2_llli
; %bb.0:
	s_load_b128 s[12:15], s[0:1], 0x0
	s_wait_kmcnt 0x0
	s_cmp_eq_f32 s14, 1.0
	s_cselect_b32 s2, -1, 0
	s_cmp_eq_f32 s15, 0
	s_cselect_b32 s3, -1, 0
	s_delay_alu instid0(SALU_CYCLE_1) | instskip(NEXT) | instid1(SALU_CYCLE_1)
	s_and_b32 s2, s2, s3
	s_and_b32 vcc_lo, exec_lo, s2
	s_cbranch_vccnz .LBB15_9
; %bb.1:
	s_load_b32 s18, s[0:1], 0x30
	s_lshr_b32 s19, ttmp7, 16
	s_wait_kmcnt 0x0
	s_cmp_ge_u32 s19, s18
	s_cbranch_scc1 .LBB15_9
; %bb.2:
	s_load_b256 s[4:11], s[0:1], 0x10
	v_bfe_u32 v1, v0, 10, 10
	s_and_b32 s2, ttmp7, 0xffff
	v_and_b32_e32 v0, 0x3ff, v0
	s_ashr_i32 s17, s13, 31
	s_mov_b32 s16, s13
	v_lshl_add_u32 v1, s2, 3, v1
	s_or_b32 s3, s14, s15
	s_wait_alu 0xfffe
	s_bitset0_b32 s3, 31
	s_wait_kmcnt 0x0
	v_mad_co_u64_u32 v[3:4], null, s8, v1, 0
	s_delay_alu instid0(VALU_DEP_1) | instskip(NEXT) | instid1(VALU_DEP_1)
	v_mov_b32_e32 v2, v4
	v_mad_co_u64_u32 v[4:5], null, s9, v1, v[2:3]
	v_mov_b32_e32 v2, 0
	v_lshl_add_u32 v5, ttmp9, 7, v0
	s_delay_alu instid0(VALU_DEP_2) | instskip(NEXT) | instid1(VALU_DEP_2)
	v_cmp_gt_i64_e32 vcc_lo, s[16:17], v[1:2]
	v_cmp_gt_u32_e64 s2, s12, v5
	v_mov_b32_e32 v6, v2
	v_lshlrev_b64_e32 v[3:4], 3, v[3:4]
	s_and_b32 s12, s2, vcc_lo
	s_wait_alu 0xfffe
	s_cmp_lg_u32 s3, 0
	v_lshlrev_b64_e32 v[5:6], 3, v[5:6]
	s_cselect_b32 s13, -1, 0
	s_lshl_b64 s[2:3], s[6:7], 3
	s_lshl_b64 s[6:7], s[10:11], 3
	s_wait_alu 0xfffe
	v_add_co_u32 v0, vcc_lo, v3, s2
	s_delay_alu instid0(VALU_DEP_1)
	v_add_co_ci_u32_e64 v3, null, s3, v4, vcc_lo
	s_mov_b32 s3, 0
	v_add_co_u32 v0, vcc_lo, v0, v5
	s_wait_alu 0xfffd
	v_add_co_ci_u32_e64 v3, null, v3, v6, vcc_lo
	s_lshl_b64 s[8:9], s[8:9], 3
	v_add_co_u32 v0, vcc_lo, s4, v0
	s_wait_alu 0xfffd
	v_add_co_ci_u32_e64 v4, null, s5, v3, vcc_lo
	s_add_nc_u64 s[4:5], s[0:1], 56
	v_add_co_u32 v3, vcc_lo, v0, 4
	s_wait_alu 0xfffd
	v_add_co_ci_u32_e64 v4, null, 0, v4, vcc_lo
	s_branch .LBB15_4
.LBB15_3:                               ;   in Loop: Header=BB15_4 Depth=1
	s_wait_alu 0xfffe
	s_or_b32 exec_lo, exec_lo, s1
	s_add_co_i32 s19, s19, 0x10000
	s_wait_alu 0xfffe
	s_cmp_lt_u32 s19, s18
	s_cbranch_scc0 .LBB15_9
.LBB15_4:                               ; =>This Loop Header: Depth=1
                                        ;     Child Loop BB15_7 Depth 2
	s_and_saveexec_b32 s1, s12
	s_cbranch_execz .LBB15_3
; %bb.5:                                ;   in Loop: Header=BB15_4 Depth=1
	s_load_b32 s0, s[4:5], 0x4
	v_mad_co_u64_u32 v[5:6], null, s6, s19, v[3:4]
	s_mov_b32 s20, 0
	v_mov_b32_e32 v0, v6
	s_delay_alu instid0(VALU_DEP_1)
	v_mad_co_u64_u32 v[6:7], null, s7, s19, v[0:1]
	v_dual_mov_b32 v8, v2 :: v_dual_mov_b32 v7, v1
	s_wait_kmcnt 0x0
	s_lshl_b32 s2, s0, 3
	s_wait_alu 0xfffe
	s_mul_u64 s[10:11], s[8:9], s[2:3]
	s_branch .LBB15_7
.LBB15_6:                               ;   in Loop: Header=BB15_7 Depth=2
	v_add_co_u32 v7, vcc_lo, v7, s2
	s_wait_alu 0xfffd
	v_add_co_ci_u32_e64 v8, null, 0, v8, vcc_lo
	global_store_b64 v[5:6], v[9:10], off offset:-4
	v_add_co_u32 v5, s0, v5, s10
	v_cmp_le_i64_e32 vcc_lo, s[16:17], v[7:8]
	s_wait_alu 0xf1ff
	v_add_co_ci_u32_e64 v6, null, s11, v6, s0
	s_or_b32 s20, vcc_lo, s20
	s_delay_alu instid0(SALU_CYCLE_1)
	s_and_not1_b32 exec_lo, exec_lo, s20
	s_cbranch_execz .LBB15_3
.LBB15_7:                               ;   Parent Loop BB15_4 Depth=1
                                        ; =>  This Inner Loop Header: Depth=2
	v_dual_mov_b32 v10, 0 :: v_dual_mov_b32 v9, 0
	s_and_not1_b32 vcc_lo, exec_lo, s13
	s_wait_alu 0xfffe
	s_cbranch_vccnz .LBB15_6
; %bb.8:                                ;   in Loop: Header=BB15_7 Depth=2
	global_load_b64 v[11:12], v[5:6], off offset:-4
	s_wait_loadcnt 0x0
	v_mul_f32_e32 v0, s15, v12
	v_mul_f32_e32 v10, s14, v12
	s_delay_alu instid0(VALU_DEP_2) | instskip(NEXT) | instid1(VALU_DEP_2)
	v_fma_f32 v9, v11, s14, -v0
	v_fmac_f32_e32 v10, s15, v11
	s_branch .LBB15_6
.LBB15_9:
	s_endpgm
	.section	.rodata,"a",@progbits
	.p2align	6, 0x0
	.amdhsa_kernel _ZL25rocblas_symm_scale_kernelILi128ELi8E19rocblas_complex_numIfEPS1_EviiT1_T2_llli
		.amdhsa_group_segment_fixed_size 0
		.amdhsa_private_segment_fixed_size 0
		.amdhsa_kernarg_size 312
		.amdhsa_user_sgpr_count 2
		.amdhsa_user_sgpr_dispatch_ptr 0
		.amdhsa_user_sgpr_queue_ptr 0
		.amdhsa_user_sgpr_kernarg_segment_ptr 1
		.amdhsa_user_sgpr_dispatch_id 0
		.amdhsa_user_sgpr_private_segment_size 0
		.amdhsa_wavefront_size32 1
		.amdhsa_uses_dynamic_stack 0
		.amdhsa_enable_private_segment 0
		.amdhsa_system_sgpr_workgroup_id_x 1
		.amdhsa_system_sgpr_workgroup_id_y 1
		.amdhsa_system_sgpr_workgroup_id_z 1
		.amdhsa_system_sgpr_workgroup_info 0
		.amdhsa_system_vgpr_workitem_id 1
		.amdhsa_next_free_vgpr 13
		.amdhsa_next_free_sgpr 21
		.amdhsa_reserve_vcc 1
		.amdhsa_float_round_mode_32 0
		.amdhsa_float_round_mode_16_64 0
		.amdhsa_float_denorm_mode_32 3
		.amdhsa_float_denorm_mode_16_64 3
		.amdhsa_fp16_overflow 0
		.amdhsa_workgroup_processor_mode 1
		.amdhsa_memory_ordered 1
		.amdhsa_forward_progress 1
		.amdhsa_inst_pref_size 5
		.amdhsa_round_robin_scheduling 0
		.amdhsa_exception_fp_ieee_invalid_op 0
		.amdhsa_exception_fp_denorm_src 0
		.amdhsa_exception_fp_ieee_div_zero 0
		.amdhsa_exception_fp_ieee_overflow 0
		.amdhsa_exception_fp_ieee_underflow 0
		.amdhsa_exception_fp_ieee_inexact 0
		.amdhsa_exception_int_div_zero 0
	.end_amdhsa_kernel
	.section	.text._ZL25rocblas_symm_scale_kernelILi128ELi8E19rocblas_complex_numIfEPS1_EviiT1_T2_llli,"axG",@progbits,_ZL25rocblas_symm_scale_kernelILi128ELi8E19rocblas_complex_numIfEPS1_EviiT1_T2_llli,comdat
.Lfunc_end15:
	.size	_ZL25rocblas_symm_scale_kernelILi128ELi8E19rocblas_complex_numIfEPS1_EviiT1_T2_llli, .Lfunc_end15-_ZL25rocblas_symm_scale_kernelILi128ELi8E19rocblas_complex_numIfEPS1_EviiT1_T2_llli
                                        ; -- End function
	.set _ZL25rocblas_symm_scale_kernelILi128ELi8E19rocblas_complex_numIfEPS1_EviiT1_T2_llli.num_vgpr, 13
	.set _ZL25rocblas_symm_scale_kernelILi128ELi8E19rocblas_complex_numIfEPS1_EviiT1_T2_llli.num_agpr, 0
	.set _ZL25rocblas_symm_scale_kernelILi128ELi8E19rocblas_complex_numIfEPS1_EviiT1_T2_llli.numbered_sgpr, 21
	.set _ZL25rocblas_symm_scale_kernelILi128ELi8E19rocblas_complex_numIfEPS1_EviiT1_T2_llli.num_named_barrier, 0
	.set _ZL25rocblas_symm_scale_kernelILi128ELi8E19rocblas_complex_numIfEPS1_EviiT1_T2_llli.private_seg_size, 0
	.set _ZL25rocblas_symm_scale_kernelILi128ELi8E19rocblas_complex_numIfEPS1_EviiT1_T2_llli.uses_vcc, 1
	.set _ZL25rocblas_symm_scale_kernelILi128ELi8E19rocblas_complex_numIfEPS1_EviiT1_T2_llli.uses_flat_scratch, 0
	.set _ZL25rocblas_symm_scale_kernelILi128ELi8E19rocblas_complex_numIfEPS1_EviiT1_T2_llli.has_dyn_sized_stack, 0
	.set _ZL25rocblas_symm_scale_kernelILi128ELi8E19rocblas_complex_numIfEPS1_EviiT1_T2_llli.has_recursion, 0
	.set _ZL25rocblas_symm_scale_kernelILi128ELi8E19rocblas_complex_numIfEPS1_EviiT1_T2_llli.has_indirect_call, 0
	.section	.AMDGPU.csdata,"",@progbits
; Kernel info:
; codeLenInByte = 560
; TotalNumSgprs: 23
; NumVgprs: 13
; ScratchSize: 0
; MemoryBound: 0
; FloatMode: 240
; IeeeMode: 1
; LDSByteSize: 0 bytes/workgroup (compile time only)
; SGPRBlocks: 0
; VGPRBlocks: 1
; NumSGPRsForWavesPerEU: 23
; NumVGPRsForWavesPerEU: 13
; Occupancy: 16
; WaveLimiterHint : 0
; COMPUTE_PGM_RSRC2:SCRATCH_EN: 0
; COMPUTE_PGM_RSRC2:USER_SGPR: 2
; COMPUTE_PGM_RSRC2:TRAP_HANDLER: 0
; COMPUTE_PGM_RSRC2:TGID_X_EN: 1
; COMPUTE_PGM_RSRC2:TGID_Y_EN: 1
; COMPUTE_PGM_RSRC2:TGID_Z_EN: 1
; COMPUTE_PGM_RSRC2:TIDIG_COMP_CNT: 1
	.section	.text._ZL24rocblas_symm_hemm_kernelILb0ELb0ELi32E19rocblas_complex_numIfEPKS1_PS1_EvbiiT2_T3_lllS6_lllT4_llli,"axG",@progbits,_ZL24rocblas_symm_hemm_kernelILb0ELb0ELi32E19rocblas_complex_numIfEPKS1_PS1_EvbiiT2_T3_lllS6_lllT4_llli,comdat
	.globl	_ZL24rocblas_symm_hemm_kernelILb0ELb0ELi32E19rocblas_complex_numIfEPKS1_PS1_EvbiiT2_T3_lllS6_lllT4_llli ; -- Begin function _ZL24rocblas_symm_hemm_kernelILb0ELb0ELi32E19rocblas_complex_numIfEPKS1_PS1_EvbiiT2_T3_lllS6_lllT4_llli
	.p2align	8
	.type	_ZL24rocblas_symm_hemm_kernelILb0ELb0ELi32E19rocblas_complex_numIfEPKS1_PS1_EvbiiT2_T3_lllS6_lllT4_llli,@function
_ZL24rocblas_symm_hemm_kernelILb0ELb0ELi32E19rocblas_complex_numIfEPKS1_PS1_EvbiiT2_T3_lllS6_lllT4_llli: ; @_ZL24rocblas_symm_hemm_kernelILb0ELb0ELi32E19rocblas_complex_numIfEPKS1_PS1_EvbiiT2_T3_lllS6_lllT4_llli
; %bb.0:
	s_clause 0x1
	s_load_b128 s[28:31], s[0:1], 0x0
	s_load_b32 s33, s[0:1], 0x10
	s_wait_kmcnt 0x0
	s_cmp_eq_f32 s31, 0
	s_cselect_b32 s2, -1, 0
	s_cmp_eq_f32 s33, 0
	s_cselect_b32 s3, -1, 0
	s_delay_alu instid0(SALU_CYCLE_1) | instskip(NEXT) | instid1(SALU_CYCLE_1)
	s_and_b32 s2, s2, s3
	s_and_b32 vcc_lo, exec_lo, s2
	s_cbranch_vccnz .LBB16_16
; %bb.1:
	s_load_b32 s36, s[0:1], 0x78
	s_lshr_b32 s34, ttmp7, 16
	s_wait_kmcnt 0x0
	s_cmp_ge_u32 s34, s36
	s_cbranch_scc1 .LBB16_16
; %bb.2:
	s_clause 0x1
	s_load_b512 s[4:19], s[0:1], 0x18
	s_load_b256 s[20:27], s[0:1], 0x58
	v_and_b32_e32 v10, 0x3ff, v0
	v_bfe_u32 v9, v0, 10, 10
	s_delay_alu instid0(VALU_DEP_2) | instskip(NEXT) | instid1(VALU_DEP_2)
	v_lshl_add_u32 v0, ttmp9, 5, v10
	v_lshlrev_b32_e32 v2, 3, v9
	v_lshlrev_b32_e32 v11, 8, v10
	s_delay_alu instid0(VALU_DEP_3) | instskip(NEXT) | instid1(VALU_DEP_3)
	v_ashrrev_i32_e32 v1, 31, v0
	v_or_b32_e32 v12, 0x2000, v2
	s_delay_alu instid0(VALU_DEP_3) | instskip(SKIP_1) | instid1(VALU_DEP_4)
	v_add_nc_u32_e32 v13, v11, v2
	v_cmp_gt_i32_e64 s2, s29, v0
	v_lshlrev_b64_e32 v[1:2], 3, v[0:1]
	s_delay_alu instid0(VALU_DEP_4)
	v_add_nc_u32_e32 v14, v12, v11
	v_add_nc_u32_e32 v15, 0x800, v12
	s_wait_kmcnt 0x0
	s_lshl_b64 s[6:7], s[6:7], 3
	s_lshl_b64 s[14:15], s[14:15], 3
	s_bitcmp1_b32 s28, 0
	s_add_nc_u64 s[4:5], s[4:5], s[6:7]
	s_cselect_b32 s3, -1, 0
	s_add_co_i32 s28, s30, -1
	s_lshl_b64 s[6:7], s[22:23], 3
	s_wait_alu 0xfffe
	s_ashr_i32 s35, s28, 31
	s_add_nc_u64 s[6:7], s[20:21], s[6:7]
	s_lshr_b32 s35, s35, 27
	s_and_b32 s22, ttmp7, 0xffff
	s_add_co_i32 s28, s28, s35
	v_add_co_u32 v17, vcc_lo, s6, v1
	s_wait_alu 0xfffe
	s_ashr_i32 s23, s28, 5
	v_add_nc_u32_e32 v16, 0x1000, v12
	s_cmp_le_i32 s22, s23
	v_add_co_ci_u32_e64 v18, null, s7, v2, vcc_lo
	v_add_nc_u32_e32 v19, 0x1800, v12
	s_cselect_b32 s28, -1, 0
	s_cmp_gt_i32 s29, 0
	s_add_nc_u64 s[6:7], s[12:13], s[14:15]
	s_cselect_b32 s37, -1, 0
	s_mov_b32 s35, 0
	s_add_nc_u64 s[12:13], s[0:1], 0x80
	s_branch .LBB16_4
.LBB16_3:                               ;   in Loop: Header=BB16_4 Depth=1
	s_add_co_i32 s34, s34, 0x10000
	s_delay_alu instid0(SALU_CYCLE_1)
	s_cmp_lt_u32 s34, s36
	s_cbranch_scc0 .LBB16_16
.LBB16_4:                               ; =>This Loop Header: Depth=1
                                        ;     Child Loop BB16_7 Depth 2
                                        ;       Child Loop BB16_10 Depth 3
	s_wait_alu 0xfffe
	s_and_not1_b32 vcc_lo, exec_lo, s28
	s_wait_alu 0xfffe
	s_cbranch_vccnz .LBB16_3
; %bb.5:                                ;   in Loop: Header=BB16_4 Depth=1
	s_load_b32 s1, s[12:13], 0x4
	s_mul_u64 s[38:39], s[26:27], s[34:35]
	s_mul_u64 s[14:15], s[10:11], s[34:35]
	s_wait_alu 0xfffe
	s_lshl_b64 s[38:39], s[38:39], 3
	s_mul_u64 s[20:21], s[18:19], s[34:35]
	s_wait_alu 0xfffe
	v_add_co_u32 v20, vcc_lo, v17, s38
	s_wait_alu 0xfffd
	v_add_co_ci_u32_e64 v21, null, s39, v18, vcc_lo
	s_lshl_b64 s[14:15], s[14:15], 3
	s_lshl_b64 s[20:21], s[20:21], 3
	s_wait_alu 0xfffe
	s_add_nc_u64 s[14:15], s[4:5], s[14:15]
	s_add_nc_u64 s[20:21], s[6:7], s[20:21]
	s_mov_b32 s38, s22
	s_branch .LBB16_7
.LBB16_6:                               ;   in Loop: Header=BB16_7 Depth=2
	s_wait_kmcnt 0x0
	s_add_co_i32 s38, s38, s1
	s_wait_alu 0xfffe
	s_cmp_gt_i32 s38, s23
	s_cbranch_scc1 .LBB16_3
.LBB16_7:                               ;   Parent Loop BB16_4 Depth=1
                                        ; =>  This Loop Header: Depth=2
                                        ;       Child Loop BB16_10 Depth 3
	s_and_not1_b32 vcc_lo, exec_lo, s37
	s_wait_alu 0xfffe
	s_cbranch_vccnz .LBB16_6
; %bb.8:                                ;   in Loop: Header=BB16_7 Depth=2
	v_lshl_add_u32 v5, s38, 5, v9
	s_mov_b32 s40, 0
	s_delay_alu instid0(VALU_DEP_1) | instskip(SKIP_3) | instid1(VALU_DEP_4)
	v_ashrrev_i32_e32 v6, 31, v5
	v_mul_lo_u32 v7, s17, v5
	v_mad_co_u64_u32 v[1:2], null, s16, v5, 0
	v_mul_lo_u32 v22, s25, v5
	v_mul_lo_u32 v8, s16, v6
	v_mad_co_u64_u32 v[3:4], null, s24, v5, 0
	v_mul_lo_u32 v6, s24, v6
	v_cmp_gt_i32_e32 vcc_lo, s30, v5
	s_delay_alu instid0(VALU_DEP_4) | instskip(SKIP_1) | instid1(VALU_DEP_3)
	v_add3_u32 v2, v2, v8, v7
	s_and_b32 s39, s2, vcc_lo
	v_add3_u32 v4, v4, v6, v22
	s_delay_alu instid0(VALU_DEP_2) | instskip(NEXT) | instid1(VALU_DEP_2)
	v_lshlrev_b64_e32 v[1:2], 3, v[1:2]
	v_lshlrev_b64_e32 v[3:4], 3, v[3:4]
	s_delay_alu instid0(VALU_DEP_2) | instskip(SKIP_1) | instid1(VALU_DEP_3)
	v_add_co_u32 v22, s0, s20, v1
	s_wait_alu 0xf1ff
	v_add_co_ci_u32_e64 v23, null, s21, v2, s0
	s_delay_alu instid0(VALU_DEP_3)
	v_add_co_u32 v1, s0, v20, v3
	s_wait_alu 0xf1ff
	v_add_co_ci_u32_e64 v2, null, v21, v4, s0
	s_branch .LBB16_10
.LBB16_9:                               ;   in Loop: Header=BB16_10 Depth=3
	s_wait_alu 0xfffe
	s_or_b32 exec_lo, exec_lo, s0
	s_add_co_i32 s40, s40, 32
	s_wait_loadcnt 0x0
	s_wait_storecnt 0x0
	s_wait_alu 0xfffe
	s_cmp_ge_i32 s40, s29
	s_barrier_signal -1
	s_barrier_wait -1
	global_inv scope:SCOPE_SE
	s_cbranch_scc1 .LBB16_6
.LBB16_10:                              ;   Parent Loop BB16_4 Depth=1
                                        ;     Parent Loop BB16_7 Depth=2
                                        ; =>    This Inner Loop Header: Depth=3
	s_wait_alu 0xfffe
	v_add_nc_u32_e32 v3, s40, v9
	s_delay_alu instid0(VALU_DEP_1) | instskip(SKIP_1) | instid1(VALU_DEP_1)
	v_cndmask_b32_e64 v4, v3, v0, s3
	v_cndmask_b32_e64 v5, v0, v3, s3
	v_cmp_gt_i32_e64 s0, v4, v5
	v_mov_b32_e32 v5, 0
	s_wait_alu 0xf1ff
	s_delay_alu instid0(VALU_DEP_2) | instskip(SKIP_2) | instid1(VALU_DEP_2)
	v_cndmask_b32_e64 v4, v0, v3, s0
	v_cndmask_b32_e64 v7, v3, v0, s0
	v_mov_b32_e32 v3, 0
	v_max_i32_e32 v6, v4, v7
	s_delay_alu instid0(VALU_DEP_1)
	v_cmp_gt_i32_e64 s0, s29, v6
	v_mov_b32_e32 v6, 0
	s_and_saveexec_b32 s41, s0
	s_cbranch_execz .LBB16_12
; %bb.11:                               ;   in Loop: Header=BB16_10 Depth=3
	v_ashrrev_i32_e32 v5, 31, v7
	v_mul_lo_u32 v8, s9, v7
	v_mad_co_u64_u32 v[6:7], null, s8, v7, 0
	s_delay_alu instid0(VALU_DEP_3) | instskip(NEXT) | instid1(VALU_DEP_1)
	v_mul_lo_u32 v5, s8, v5
	v_add3_u32 v7, v7, v5, v8
	v_ashrrev_i32_e32 v5, 31, v4
	s_delay_alu instid0(VALU_DEP_2) | instskip(NEXT) | instid1(VALU_DEP_2)
	v_lshlrev_b64_e32 v[6:7], 3, v[6:7]
	v_lshlrev_b64_e32 v[4:5], 3, v[4:5]
	s_delay_alu instid0(VALU_DEP_2) | instskip(SKIP_1) | instid1(VALU_DEP_3)
	v_add_co_u32 v6, s0, s14, v6
	s_wait_alu 0xf1ff
	v_add_co_ci_u32_e64 v7, null, s15, v7, s0
	s_delay_alu instid0(VALU_DEP_2) | instskip(SKIP_1) | instid1(VALU_DEP_2)
	v_add_co_u32 v4, s0, v6, v4
	s_wait_alu 0xf1ff
	v_add_co_ci_u32_e64 v5, null, v7, v5, s0
	global_load_b64 v[5:6], v[4:5], off
.LBB16_12:                              ;   in Loop: Header=BB16_10 Depth=3
	s_wait_alu 0xfffe
	s_or_b32 exec_lo, exec_lo, s41
	v_dual_mov_b32 v4, 0 :: v_dual_add_nc_u32 v7, s40, v10
	s_wait_loadcnt 0x0
	ds_store_b64 v13, v[5:6]
	v_cmp_gt_i32_e64 s0, s29, v7
	s_and_b32 s0, s0, vcc_lo
	s_wait_alu 0xfffe
	s_and_saveexec_b32 s41, s0
	s_cbranch_execz .LBB16_14
; %bb.13:                               ;   in Loop: Header=BB16_10 Depth=3
	v_ashrrev_i32_e32 v8, 31, v7
	s_delay_alu instid0(VALU_DEP_1) | instskip(NEXT) | instid1(VALU_DEP_1)
	v_lshlrev_b64_e32 v[3:4], 3, v[7:8]
	v_add_co_u32 v3, s0, v22, v3
	s_wait_alu 0xf1ff
	s_delay_alu instid0(VALU_DEP_2)
	v_add_co_ci_u32_e64 v4, null, v23, v4, s0
	global_load_b64 v[3:4], v[3:4], off
.LBB16_14:                              ;   in Loop: Header=BB16_10 Depth=3
	s_wait_alu 0xfffe
	s_or_b32 exec_lo, exec_lo, s41
	s_wait_loadcnt 0x0
	ds_store_b64 v14, v[3:4]
	s_wait_dscnt 0x0
	s_barrier_signal -1
	s_barrier_wait -1
	global_inv scope:SCOPE_SE
	s_and_saveexec_b32 s0, s39
	s_cbranch_execz .LBB16_9
; %bb.15:                               ;   in Loop: Header=BB16_10 Depth=3
	ds_load_b128 v[3:6], v11
	ds_load_b128 v[24:27], v11 offset:16
	ds_load_b128 v[28:31], v11 offset:32
	;; [unrolled: 1-line block ×3, first 2 shown]
	ds_load_2addr_b64 v[36:39], v12 offset1:32
	s_wait_dscnt 0x0
	v_mul_f32_e32 v7, v37, v4
	s_delay_alu instid0(VALU_DEP_1) | instskip(SKIP_1) | instid1(VALU_DEP_1)
	v_fma_f32 v7, v36, v3, -v7
	v_mul_f32_e32 v4, v36, v4
	v_fmac_f32_e32 v4, v37, v3
	s_delay_alu instid0(VALU_DEP_3) | instskip(SKIP_2) | instid1(VALU_DEP_2)
	v_add_f32_e32 v3, 0, v7
	v_mul_f32_e32 v7, v39, v6
	v_mul_f32_e32 v6, v38, v6
	v_fma_f32 v7, v38, v5, -v7
	v_add_f32_e32 v4, 0, v4
	s_delay_alu instid0(VALU_DEP_3) | instskip(NEXT) | instid1(VALU_DEP_1)
	v_fmac_f32_e32 v6, v39, v5
	v_dual_add_f32 v7, v3, v7 :: v_dual_add_f32 v8, v4, v6
	ds_load_2addr_b64 v[3:6], v12 offset0:64 offset1:96
	s_wait_dscnt 0x0
	v_mul_f32_e32 v36, v4, v25
	s_delay_alu instid0(VALU_DEP_1) | instskip(SKIP_1) | instid1(VALU_DEP_1)
	v_fma_f32 v36, v3, v24, -v36
	v_mul_f32_e32 v3, v3, v25
	v_fmac_f32_e32 v3, v4, v24
	s_delay_alu instid0(VALU_DEP_3) | instskip(NEXT) | instid1(VALU_DEP_2)
	v_dual_add_f32 v4, v7, v36 :: v_dual_mul_f32 v7, v6, v27
	v_add_f32_e32 v3, v8, v3
	s_delay_alu instid0(VALU_DEP_2) | instskip(SKIP_1) | instid1(VALU_DEP_2)
	v_fma_f32 v7, v5, v26, -v7
	v_mul_f32_e32 v5, v5, v27
	v_add_f32_e32 v7, v4, v7
	s_delay_alu instid0(VALU_DEP_2) | instskip(NEXT) | instid1(VALU_DEP_1)
	v_fmac_f32_e32 v5, v6, v26
	v_add_f32_e32 v8, v3, v5
	ds_load_2addr_b64 v[3:6], v12 offset0:128 offset1:160
	s_wait_dscnt 0x0
	v_mul_f32_e32 v24, v4, v29
	s_delay_alu instid0(VALU_DEP_1) | instskip(SKIP_1) | instid1(VALU_DEP_1)
	v_fma_f32 v24, v3, v28, -v24
	v_mul_f32_e32 v3, v3, v29
	v_fmac_f32_e32 v3, v4, v28
	s_delay_alu instid0(VALU_DEP_3) | instskip(NEXT) | instid1(VALU_DEP_1)
	v_dual_add_f32 v4, v7, v24 :: v_dual_mul_f32 v7, v6, v31
	v_fma_f32 v7, v5, v30, -v7
	v_mul_f32_e32 v5, v5, v31
	s_delay_alu instid0(VALU_DEP_2) | instskip(SKIP_1) | instid1(VALU_DEP_3)
	v_add_f32_e32 v7, v4, v7
	v_add_f32_e32 v3, v8, v3
	v_fmac_f32_e32 v5, v6, v30
	s_delay_alu instid0(VALU_DEP_1) | instskip(SKIP_3) | instid1(VALU_DEP_1)
	v_add_f32_e32 v8, v3, v5
	ds_load_2addr_b64 v[3:6], v12 offset0:192 offset1:224
	s_wait_dscnt 0x0
	v_mul_f32_e32 v24, v4, v33
	v_fma_f32 v24, v3, v32, -v24
	v_mul_f32_e32 v3, v3, v33
	s_delay_alu instid0(VALU_DEP_1) | instskip(NEXT) | instid1(VALU_DEP_3)
	v_fmac_f32_e32 v3, v4, v32
	v_dual_add_f32 v4, v7, v24 :: v_dual_mul_f32 v7, v6, v35
	s_delay_alu instid0(VALU_DEP_2) | instskip(NEXT) | instid1(VALU_DEP_2)
	v_add_f32_e32 v3, v8, v3
	v_fma_f32 v7, v5, v34, -v7
	v_mul_f32_e32 v5, v5, v35
	s_delay_alu instid0(VALU_DEP_2) | instskip(NEXT) | instid1(VALU_DEP_2)
	v_add_f32_e32 v7, v4, v7
	v_fmac_f32_e32 v5, v6, v34
	s_delay_alu instid0(VALU_DEP_1)
	v_add_f32_e32 v8, v3, v5
	ds_load_b128 v[3:6], v11 offset:64
	ds_load_2addr_b64 v[24:27], v15 offset1:32
	s_wait_dscnt 0x0
	v_mul_f32_e32 v28, v25, v4
	v_mul_f32_e32 v4, v24, v4
	s_delay_alu instid0(VALU_DEP_2) | instskip(NEXT) | instid1(VALU_DEP_1)
	v_fma_f32 v28, v24, v3, -v28
	v_dual_fmac_f32 v4, v25, v3 :: v_dual_add_f32 v3, v7, v28
	v_mul_f32_e32 v7, v27, v6
	v_mul_f32_e32 v6, v26, v6
	s_delay_alu instid0(VALU_DEP_3) | instskip(NEXT) | instid1(VALU_DEP_3)
	v_add_f32_e32 v4, v8, v4
	v_fma_f32 v7, v26, v5, -v7
	s_delay_alu instid0(VALU_DEP_3) | instskip(NEXT) | instid1(VALU_DEP_1)
	v_fmac_f32_e32 v6, v27, v5
	v_dual_add_f32 v8, v4, v6 :: v_dual_add_f32 v7, v3, v7
	ds_load_b128 v[3:6], v11 offset:80
	ds_load_2addr_b64 v[24:27], v15 offset0:64 offset1:96
	s_wait_dscnt 0x0
	v_mul_f32_e32 v28, v25, v4
	v_mul_f32_e32 v4, v24, v4
	s_delay_alu instid0(VALU_DEP_2) | instskip(NEXT) | instid1(VALU_DEP_2)
	v_fma_f32 v28, v24, v3, -v28
	v_fmac_f32_e32 v4, v25, v3
	s_delay_alu instid0(VALU_DEP_1) | instskip(NEXT) | instid1(VALU_DEP_3)
	v_add_f32_e32 v4, v8, v4
	v_add_f32_e32 v3, v7, v28
	v_mul_f32_e32 v7, v27, v6
	v_mul_f32_e32 v6, v26, v6
	s_delay_alu instid0(VALU_DEP_2) | instskip(NEXT) | instid1(VALU_DEP_2)
	v_fma_f32 v7, v26, v5, -v7
	v_fmac_f32_e32 v6, v27, v5
	s_delay_alu instid0(VALU_DEP_1)
	v_dual_add_f32 v7, v3, v7 :: v_dual_add_f32 v8, v4, v6
	ds_load_b128 v[3:6], v11 offset:96
	ds_load_2addr_b64 v[24:27], v15 offset0:128 offset1:160
	s_wait_dscnt 0x0
	v_mul_f32_e32 v28, v25, v4
	v_mul_f32_e32 v4, v24, v4
	s_delay_alu instid0(VALU_DEP_2) | instskip(NEXT) | instid1(VALU_DEP_1)
	v_fma_f32 v28, v24, v3, -v28
	v_dual_fmac_f32 v4, v25, v3 :: v_dual_add_f32 v3, v7, v28
	s_delay_alu instid0(VALU_DEP_1) | instskip(SKIP_1) | instid1(VALU_DEP_2)
	v_dual_add_f32 v4, v8, v4 :: v_dual_mul_f32 v7, v27, v6
	v_mul_f32_e32 v6, v26, v6
	v_fma_f32 v7, v26, v5, -v7
	s_delay_alu instid0(VALU_DEP_2) | instskip(NEXT) | instid1(VALU_DEP_1)
	v_fmac_f32_e32 v6, v27, v5
	v_dual_add_f32 v7, v3, v7 :: v_dual_add_f32 v8, v4, v6
	ds_load_b128 v[3:6], v11 offset:112
	ds_load_2addr_b64 v[24:27], v15 offset0:192 offset1:224
	s_wait_dscnt 0x0
	v_mul_f32_e32 v28, v25, v4
	v_mul_f32_e32 v4, v24, v4
	s_delay_alu instid0(VALU_DEP_2) | instskip(NEXT) | instid1(VALU_DEP_1)
	v_fma_f32 v28, v24, v3, -v28
	v_dual_fmac_f32 v4, v25, v3 :: v_dual_add_f32 v3, v7, v28
	s_delay_alu instid0(VALU_DEP_1) | instskip(NEXT) | instid1(VALU_DEP_1)
	v_dual_mul_f32 v7, v27, v6 :: v_dual_add_f32 v4, v8, v4
	v_fma_f32 v7, v26, v5, -v7
	s_delay_alu instid0(VALU_DEP_1) | instskip(NEXT) | instid1(VALU_DEP_1)
	v_dual_add_f32 v7, v3, v7 :: v_dual_mul_f32 v6, v26, v6
	v_fmac_f32_e32 v6, v27, v5
	s_delay_alu instid0(VALU_DEP_1)
	v_add_f32_e32 v8, v4, v6
	ds_load_b128 v[3:6], v11 offset:128
	ds_load_2addr_b64 v[24:27], v16 offset1:32
	s_wait_dscnt 0x0
	v_mul_f32_e32 v28, v25, v4
	v_mul_f32_e32 v4, v24, v4
	s_delay_alu instid0(VALU_DEP_2) | instskip(NEXT) | instid1(VALU_DEP_1)
	v_fma_f32 v28, v24, v3, -v28
	v_dual_fmac_f32 v4, v25, v3 :: v_dual_add_f32 v3, v7, v28
	v_mul_f32_e32 v7, v27, v6
	v_mul_f32_e32 v6, v26, v6
	s_delay_alu instid0(VALU_DEP_2) | instskip(NEXT) | instid1(VALU_DEP_2)
	v_fma_f32 v7, v26, v5, -v7
	v_fmac_f32_e32 v6, v27, v5
	s_delay_alu instid0(VALU_DEP_2) | instskip(NEXT) | instid1(VALU_DEP_1)
	v_dual_add_f32 v7, v3, v7 :: v_dual_add_f32 v4, v8, v4
	v_add_f32_e32 v8, v4, v6
	ds_load_b128 v[3:6], v11 offset:144
	ds_load_2addr_b64 v[24:27], v16 offset0:64 offset1:96
	s_wait_dscnt 0x0
	v_mul_f32_e32 v28, v25, v4
	v_mul_f32_e32 v4, v24, v4
	s_delay_alu instid0(VALU_DEP_2) | instskip(NEXT) | instid1(VALU_DEP_1)
	v_fma_f32 v28, v24, v3, -v28
	v_dual_fmac_f32 v4, v25, v3 :: v_dual_add_f32 v3, v7, v28
	v_mul_f32_e32 v7, v27, v6
	v_mul_f32_e32 v6, v26, v6
	s_delay_alu instid0(VALU_DEP_3) | instskip(NEXT) | instid1(VALU_DEP_3)
	v_add_f32_e32 v4, v8, v4
	v_fma_f32 v7, v26, v5, -v7
	s_delay_alu instid0(VALU_DEP_3) | instskip(NEXT) | instid1(VALU_DEP_1)
	v_fmac_f32_e32 v6, v27, v5
	v_dual_add_f32 v7, v3, v7 :: v_dual_add_f32 v8, v4, v6
	ds_load_b128 v[3:6], v11 offset:160
	ds_load_2addr_b64 v[24:27], v16 offset0:128 offset1:160
	s_wait_dscnt 0x0
	v_mul_f32_e32 v28, v25, v4
	v_mul_f32_e32 v4, v24, v4
	s_delay_alu instid0(VALU_DEP_2) | instskip(NEXT) | instid1(VALU_DEP_1)
	v_fma_f32 v28, v24, v3, -v28
	v_dual_fmac_f32 v4, v25, v3 :: v_dual_add_f32 v3, v7, v28
	v_mul_f32_e32 v7, v27, v6
	v_mul_f32_e32 v6, v26, v6
	s_delay_alu instid0(VALU_DEP_3) | instskip(NEXT) | instid1(VALU_DEP_3)
	v_add_f32_e32 v4, v8, v4
	v_fma_f32 v7, v26, v5, -v7
	s_delay_alu instid0(VALU_DEP_3) | instskip(NEXT) | instid1(VALU_DEP_1)
	v_fmac_f32_e32 v6, v27, v5
	v_dual_add_f32 v7, v3, v7 :: v_dual_add_f32 v8, v4, v6
	;; [unrolled: 16-line block ×3, first 2 shown]
	ds_load_b128 v[3:6], v11 offset:192
	ds_load_2addr_b64 v[24:27], v19 offset1:32
	s_wait_dscnt 0x0
	v_mul_f32_e32 v28, v25, v4
	v_mul_f32_e32 v4, v24, v4
	s_delay_alu instid0(VALU_DEP_2) | instskip(NEXT) | instid1(VALU_DEP_1)
	v_fma_f32 v28, v24, v3, -v28
	v_dual_fmac_f32 v4, v25, v3 :: v_dual_add_f32 v3, v7, v28
	v_mul_f32_e32 v7, v27, v6
	v_mul_f32_e32 v6, v26, v6
	s_delay_alu instid0(VALU_DEP_3) | instskip(NEXT) | instid1(VALU_DEP_3)
	v_add_f32_e32 v4, v8, v4
	v_fma_f32 v7, v26, v5, -v7
	s_delay_alu instid0(VALU_DEP_3) | instskip(NEXT) | instid1(VALU_DEP_1)
	v_fmac_f32_e32 v6, v27, v5
	v_dual_add_f32 v7, v3, v7 :: v_dual_add_f32 v8, v4, v6
	ds_load_b128 v[3:6], v11 offset:208
	ds_load_2addr_b64 v[24:27], v19 offset0:64 offset1:96
	s_wait_dscnt 0x0
	v_mul_f32_e32 v28, v25, v4
	v_mul_f32_e32 v4, v24, v4
	s_delay_alu instid0(VALU_DEP_2) | instskip(NEXT) | instid1(VALU_DEP_1)
	v_fma_f32 v28, v24, v3, -v28
	v_dual_fmac_f32 v4, v25, v3 :: v_dual_add_f32 v3, v7, v28
	v_mul_f32_e32 v7, v27, v6
	v_mul_f32_e32 v6, v26, v6
	s_delay_alu instid0(VALU_DEP_3) | instskip(NEXT) | instid1(VALU_DEP_3)
	v_add_f32_e32 v4, v8, v4
	v_fma_f32 v7, v26, v5, -v7
	s_delay_alu instid0(VALU_DEP_3) | instskip(NEXT) | instid1(VALU_DEP_1)
	v_fmac_f32_e32 v6, v27, v5
	v_dual_add_f32 v7, v3, v7 :: v_dual_add_f32 v8, v4, v6
	ds_load_b128 v[3:6], v11 offset:224
	ds_load_2addr_b64 v[24:27], v19 offset0:128 offset1:160
	;; [unrolled: 16-line block ×3, first 2 shown]
	s_wait_dscnt 0x0
	v_mul_f32_e32 v28, v25, v4
	v_mul_f32_e32 v4, v24, v4
	s_delay_alu instid0(VALU_DEP_2) | instskip(NEXT) | instid1(VALU_DEP_1)
	v_fma_f32 v28, v24, v3, -v28
	v_dual_fmac_f32 v4, v25, v3 :: v_dual_add_f32 v3, v7, v28
	v_mul_f32_e32 v7, v27, v6
	v_mul_f32_e32 v6, v26, v6
	s_delay_alu instid0(VALU_DEP_3) | instskip(NEXT) | instid1(VALU_DEP_3)
	v_add_f32_e32 v4, v8, v4
	v_fma_f32 v7, v26, v5, -v7
	s_delay_alu instid0(VALU_DEP_3) | instskip(NEXT) | instid1(VALU_DEP_1)
	v_fmac_f32_e32 v6, v27, v5
	v_dual_add_f32 v5, v3, v7 :: v_dual_add_f32 v6, v4, v6
	s_delay_alu instid0(VALU_DEP_1) | instskip(NEXT) | instid1(VALU_DEP_1)
	v_dual_mul_f32 v4, s33, v5 :: v_dual_mul_f32 v3, s33, v6
	v_fmac_f32_e32 v4, s31, v6
	s_delay_alu instid0(VALU_DEP_2)
	v_fma_f32 v3, s31, v5, -v3
	global_load_b64 v[5:6], v[1:2], off
	s_wait_loadcnt 0x0
	v_dual_add_f32 v3, v5, v3 :: v_dual_add_f32 v4, v6, v4
	global_store_b64 v[1:2], v[3:4], off
	s_branch .LBB16_9
.LBB16_16:
	s_endpgm
	.section	.rodata,"a",@progbits
	.p2align	6, 0x0
	.amdhsa_kernel _ZL24rocblas_symm_hemm_kernelILb0ELb0ELi32E19rocblas_complex_numIfEPKS1_PS1_EvbiiT2_T3_lllS6_lllT4_llli
		.amdhsa_group_segment_fixed_size 16384
		.amdhsa_private_segment_fixed_size 0
		.amdhsa_kernarg_size 384
		.amdhsa_user_sgpr_count 2
		.amdhsa_user_sgpr_dispatch_ptr 0
		.amdhsa_user_sgpr_queue_ptr 0
		.amdhsa_user_sgpr_kernarg_segment_ptr 1
		.amdhsa_user_sgpr_dispatch_id 0
		.amdhsa_user_sgpr_private_segment_size 0
		.amdhsa_wavefront_size32 1
		.amdhsa_uses_dynamic_stack 0
		.amdhsa_enable_private_segment 0
		.amdhsa_system_sgpr_workgroup_id_x 1
		.amdhsa_system_sgpr_workgroup_id_y 1
		.amdhsa_system_sgpr_workgroup_id_z 1
		.amdhsa_system_sgpr_workgroup_info 0
		.amdhsa_system_vgpr_workitem_id 1
		.amdhsa_next_free_vgpr 40
		.amdhsa_next_free_sgpr 42
		.amdhsa_reserve_vcc 1
		.amdhsa_float_round_mode_32 0
		.amdhsa_float_round_mode_16_64 0
		.amdhsa_float_denorm_mode_32 3
		.amdhsa_float_denorm_mode_16_64 3
		.amdhsa_fp16_overflow 0
		.amdhsa_workgroup_processor_mode 1
		.amdhsa_memory_ordered 1
		.amdhsa_forward_progress 1
		.amdhsa_inst_pref_size 20
		.amdhsa_round_robin_scheduling 0
		.amdhsa_exception_fp_ieee_invalid_op 0
		.amdhsa_exception_fp_denorm_src 0
		.amdhsa_exception_fp_ieee_div_zero 0
		.amdhsa_exception_fp_ieee_overflow 0
		.amdhsa_exception_fp_ieee_underflow 0
		.amdhsa_exception_fp_ieee_inexact 0
		.amdhsa_exception_int_div_zero 0
	.end_amdhsa_kernel
	.section	.text._ZL24rocblas_symm_hemm_kernelILb0ELb0ELi32E19rocblas_complex_numIfEPKS1_PS1_EvbiiT2_T3_lllS6_lllT4_llli,"axG",@progbits,_ZL24rocblas_symm_hemm_kernelILb0ELb0ELi32E19rocblas_complex_numIfEPKS1_PS1_EvbiiT2_T3_lllS6_lllT4_llli,comdat
.Lfunc_end16:
	.size	_ZL24rocblas_symm_hemm_kernelILb0ELb0ELi32E19rocblas_complex_numIfEPKS1_PS1_EvbiiT2_T3_lllS6_lllT4_llli, .Lfunc_end16-_ZL24rocblas_symm_hemm_kernelILb0ELb0ELi32E19rocblas_complex_numIfEPKS1_PS1_EvbiiT2_T3_lllS6_lllT4_llli
                                        ; -- End function
	.set _ZL24rocblas_symm_hemm_kernelILb0ELb0ELi32E19rocblas_complex_numIfEPKS1_PS1_EvbiiT2_T3_lllS6_lllT4_llli.num_vgpr, 40
	.set _ZL24rocblas_symm_hemm_kernelILb0ELb0ELi32E19rocblas_complex_numIfEPKS1_PS1_EvbiiT2_T3_lllS6_lllT4_llli.num_agpr, 0
	.set _ZL24rocblas_symm_hemm_kernelILb0ELb0ELi32E19rocblas_complex_numIfEPKS1_PS1_EvbiiT2_T3_lllS6_lllT4_llli.numbered_sgpr, 42
	.set _ZL24rocblas_symm_hemm_kernelILb0ELb0ELi32E19rocblas_complex_numIfEPKS1_PS1_EvbiiT2_T3_lllS6_lllT4_llli.num_named_barrier, 0
	.set _ZL24rocblas_symm_hemm_kernelILb0ELb0ELi32E19rocblas_complex_numIfEPKS1_PS1_EvbiiT2_T3_lllS6_lllT4_llli.private_seg_size, 0
	.set _ZL24rocblas_symm_hemm_kernelILb0ELb0ELi32E19rocblas_complex_numIfEPKS1_PS1_EvbiiT2_T3_lllS6_lllT4_llli.uses_vcc, 1
	.set _ZL24rocblas_symm_hemm_kernelILb0ELb0ELi32E19rocblas_complex_numIfEPKS1_PS1_EvbiiT2_T3_lllS6_lllT4_llli.uses_flat_scratch, 0
	.set _ZL24rocblas_symm_hemm_kernelILb0ELb0ELi32E19rocblas_complex_numIfEPKS1_PS1_EvbiiT2_T3_lllS6_lllT4_llli.has_dyn_sized_stack, 0
	.set _ZL24rocblas_symm_hemm_kernelILb0ELb0ELi32E19rocblas_complex_numIfEPKS1_PS1_EvbiiT2_T3_lllS6_lllT4_llli.has_recursion, 0
	.set _ZL24rocblas_symm_hemm_kernelILb0ELb0ELi32E19rocblas_complex_numIfEPKS1_PS1_EvbiiT2_T3_lllS6_lllT4_llli.has_indirect_call, 0
	.section	.AMDGPU.csdata,"",@progbits
; Kernel info:
; codeLenInByte = 2548
; TotalNumSgprs: 44
; NumVgprs: 40
; ScratchSize: 0
; MemoryBound: 0
; FloatMode: 240
; IeeeMode: 1
; LDSByteSize: 16384 bytes/workgroup (compile time only)
; SGPRBlocks: 0
; VGPRBlocks: 4
; NumSGPRsForWavesPerEU: 44
; NumVGPRsForWavesPerEU: 40
; Occupancy: 16
; WaveLimiterHint : 0
; COMPUTE_PGM_RSRC2:SCRATCH_EN: 0
; COMPUTE_PGM_RSRC2:USER_SGPR: 2
; COMPUTE_PGM_RSRC2:TRAP_HANDLER: 0
; COMPUTE_PGM_RSRC2:TGID_X_EN: 1
; COMPUTE_PGM_RSRC2:TGID_Y_EN: 1
; COMPUTE_PGM_RSRC2:TGID_Z_EN: 1
; COMPUTE_PGM_RSRC2:TIDIG_COMP_CNT: 1
	.section	.text._ZL24rocblas_symm_hemm_kernelILb0ELb1ELi32E19rocblas_complex_numIfEPKS1_PS1_EvbiiT2_T3_lllS6_lllT4_llli,"axG",@progbits,_ZL24rocblas_symm_hemm_kernelILb0ELb1ELi32E19rocblas_complex_numIfEPKS1_PS1_EvbiiT2_T3_lllS6_lllT4_llli,comdat
	.globl	_ZL24rocblas_symm_hemm_kernelILb0ELb1ELi32E19rocblas_complex_numIfEPKS1_PS1_EvbiiT2_T3_lllS6_lllT4_llli ; -- Begin function _ZL24rocblas_symm_hemm_kernelILb0ELb1ELi32E19rocblas_complex_numIfEPKS1_PS1_EvbiiT2_T3_lllS6_lllT4_llli
	.p2align	8
	.type	_ZL24rocblas_symm_hemm_kernelILb0ELb1ELi32E19rocblas_complex_numIfEPKS1_PS1_EvbiiT2_T3_lllS6_lllT4_llli,@function
_ZL24rocblas_symm_hemm_kernelILb0ELb1ELi32E19rocblas_complex_numIfEPKS1_PS1_EvbiiT2_T3_lllS6_lllT4_llli: ; @_ZL24rocblas_symm_hemm_kernelILb0ELb1ELi32E19rocblas_complex_numIfEPKS1_PS1_EvbiiT2_T3_lllS6_lllT4_llli
; %bb.0:
	s_clause 0x1
	s_load_b128 s[28:31], s[0:1], 0x0
	s_load_b32 s33, s[0:1], 0x10
	s_wait_kmcnt 0x0
	s_cmp_eq_f32 s31, 0
	s_cselect_b32 s2, -1, 0
	s_cmp_eq_f32 s33, 0
	s_cselect_b32 s3, -1, 0
	s_delay_alu instid0(SALU_CYCLE_1) | instskip(NEXT) | instid1(SALU_CYCLE_1)
	s_and_b32 s2, s2, s3
	s_and_b32 vcc_lo, exec_lo, s2
	s_cbranch_vccnz .LBB17_16
; %bb.1:
	s_load_b32 s36, s[0:1], 0x78
	s_lshr_b32 s34, ttmp7, 16
	s_wait_kmcnt 0x0
	s_cmp_ge_u32 s34, s36
	s_cbranch_scc1 .LBB17_16
; %bb.2:
	s_clause 0x1
	s_load_b512 s[4:19], s[0:1], 0x18
	s_load_b256 s[20:27], s[0:1], 0x58
	v_and_b32_e32 v8, 0x3ff, v0
	v_bfe_u32 v9, v0, 10, 10
	s_delay_alu instid0(VALU_DEP_2) | instskip(NEXT) | instid1(VALU_DEP_2)
	v_lshl_add_u32 v0, ttmp9, 5, v8
	v_lshlrev_b32_e32 v2, 3, v9
	v_lshlrev_b32_e32 v10, 8, v8
	s_delay_alu instid0(VALU_DEP_3) | instskip(SKIP_1) | instid1(VALU_DEP_4)
	v_ashrrev_i32_e32 v1, 31, v0
	v_cmp_gt_i32_e64 s2, s29, v0
	v_or_b32_e32 v11, 0x2000, v2
	s_delay_alu instid0(VALU_DEP_4) | instskip(NEXT) | instid1(VALU_DEP_4)
	v_add_nc_u32_e32 v12, v10, v2
	v_lshlrev_b64_e32 v[0:1], 3, v[0:1]
	s_delay_alu instid0(VALU_DEP_3)
	v_add_nc_u32_e32 v13, v11, v10
	s_wait_kmcnt 0x0
	s_lshl_b64 s[6:7], s[6:7], 3
	s_bitcmp1_b32 s28, 0
	v_add_nc_u32_e32 v18, 0x800, v11
	s_cselect_b32 s3, -1, 0
	s_add_co_i32 s35, s30, -1
	s_lshl_b64 s[28:29], s[14:15], 3
	s_ashr_i32 s14, s35, 31
	s_lshl_b64 s[22:23], s[22:23], 3
	s_lshr_b32 s15, s14, 27
	s_wait_alu 0xfffe
	s_add_nc_u64 s[12:13], s[12:13], s[28:29]
	s_add_co_i32 s35, s35, s15
	s_add_nc_u64 s[22:23], s[20:21], s[22:23]
	v_add_co_u32 v14, vcc_lo, s12, v0
	s_and_b32 s14, ttmp7, 0xffff
	s_ashr_i32 s15, s35, 5
	v_add_co_ci_u32_e64 v15, null, s13, v1, vcc_lo
	v_add_co_u32 v16, vcc_lo, s22, v0
	s_cmp_le_i32 s14, s15
	s_wait_alu 0xfffd
	v_add_co_ci_u32_e64 v17, null, s23, v1, vcc_lo
	v_add_nc_u32_e32 v19, 0x1000, v11
	v_add_nc_u32_e32 v20, 0x1800, v11
	s_cselect_b32 s20, -1, 0
	s_cmp_gt_i32 s30, 0
	s_add_nc_u64 s[4:5], s[4:5], s[6:7]
	s_cselect_b32 s21, -1, 0
	s_mov_b32 s35, 0
	s_add_nc_u64 s[6:7], s[0:1], 0x80
	s_branch .LBB17_4
.LBB17_3:                               ;   in Loop: Header=BB17_4 Depth=1
	s_add_co_i32 s34, s34, 0x10000
	s_delay_alu instid0(SALU_CYCLE_1)
	s_cmp_lt_u32 s34, s36
	s_cbranch_scc0 .LBB17_16
.LBB17_4:                               ; =>This Loop Header: Depth=1
                                        ;     Child Loop BB17_7 Depth 2
                                        ;       Child Loop BB17_10 Depth 3
	s_and_not1_b32 vcc_lo, exec_lo, s20
	s_wait_alu 0xfffe
	s_cbranch_vccnz .LBB17_3
; %bb.5:                                ;   in Loop: Header=BB17_4 Depth=1
	s_load_b32 s1, s[6:7], 0x4
	s_mul_u64 s[22:23], s[18:19], s[34:35]
	s_mul_u64 s[28:29], s[26:27], s[34:35]
	s_wait_alu 0xfffe
	s_lshl_b64 s[22:23], s[22:23], 3
	s_mul_u64 s[12:13], s[10:11], s[34:35]
	s_wait_alu 0xfffe
	v_add_co_u32 v21, vcc_lo, v14, s22
	s_wait_alu 0xfffd
	v_add_co_ci_u32_e64 v22, null, s23, v15, vcc_lo
	s_lshl_b64 s[22:23], s[28:29], 3
	s_lshl_b64 s[12:13], s[12:13], 3
	s_wait_alu 0xfffe
	v_add_co_u32 v23, vcc_lo, v16, s22
	s_wait_alu 0xfffd
	v_add_co_ci_u32_e64 v24, null, s23, v17, vcc_lo
	s_add_nc_u64 s[12:13], s[4:5], s[12:13]
	s_mov_b32 s22, s14
	s_branch .LBB17_7
.LBB17_6:                               ;   in Loop: Header=BB17_7 Depth=2
	s_wait_kmcnt 0x0
	s_add_co_i32 s22, s22, s1
	s_wait_alu 0xfffe
	s_cmp_gt_i32 s22, s15
	s_cbranch_scc1 .LBB17_3
.LBB17_7:                               ;   Parent Loop BB17_4 Depth=1
                                        ; =>  This Loop Header: Depth=2
                                        ;       Child Loop BB17_10 Depth 3
	s_and_not1_b32 vcc_lo, exec_lo, s21
	s_wait_alu 0xfffe
	s_cbranch_vccnz .LBB17_6
; %bb.8:                                ;   in Loop: Header=BB17_7 Depth=2
	v_lshl_add_u32 v25, s22, 5, v9
	s_mov_b32 s23, 0
	s_delay_alu instid0(VALU_DEP_1) | instskip(SKIP_3) | instid1(VALU_DEP_4)
	v_ashrrev_i32_e32 v2, 31, v25
	v_mul_lo_u32 v3, s25, v25
	v_mad_co_u64_u32 v[0:1], null, s24, v25, 0
	v_cmp_gt_i32_e32 vcc_lo, s30, v25
	v_mul_lo_u32 v2, s24, v2
	s_delay_alu instid0(VALU_DEP_1) | instskip(NEXT) | instid1(VALU_DEP_1)
	v_add3_u32 v1, v1, v2, v3
	v_lshlrev_b64_e32 v[0:1], 3, v[0:1]
	s_delay_alu instid0(VALU_DEP_1) | instskip(SKIP_1) | instid1(VALU_DEP_2)
	v_add_co_u32 v0, s0, v23, v0
	s_wait_alu 0xf1ff
	v_add_co_ci_u32_e64 v1, null, v24, v1, s0
	s_and_b32 s0, s2, vcc_lo
	s_branch .LBB17_10
.LBB17_9:                               ;   in Loop: Header=BB17_10 Depth=3
	s_wait_alu 0xfffe
	s_or_b32 exec_lo, exec_lo, s28
	s_add_co_i32 s23, s23, 32
	s_wait_loadcnt 0x0
	s_wait_storecnt 0x0
	s_wait_alu 0xfffe
	s_cmp_ge_i32 s23, s30
	s_barrier_signal -1
	s_barrier_wait -1
	global_inv scope:SCOPE_SE
	s_cbranch_scc1 .LBB17_6
.LBB17_10:                              ;   Parent Loop BB17_4 Depth=1
                                        ;     Parent Loop BB17_7 Depth=2
                                        ; =>    This Inner Loop Header: Depth=3
	s_wait_alu 0xfffe
	v_dual_mov_b32 v2, 0 :: v_dual_add_nc_u32 v3, s23, v9
	v_dual_mov_b32 v4, 0 :: v_dual_mov_b32 v5, 0
	s_delay_alu instid0(VALU_DEP_2)
	v_cmp_gt_i32_e32 vcc_lo, s30, v3
	s_and_b32 s29, s2, vcc_lo
	s_wait_alu 0xfffe
	s_and_saveexec_b32 s28, s29
	s_cbranch_execz .LBB17_12
; %bb.11:                               ;   in Loop: Header=BB17_10 Depth=3
	v_ashrrev_i32_e32 v5, 31, v3
	v_mul_lo_u32 v6, s17, v3
	v_mad_co_u64_u32 v[3:4], null, s16, v3, 0
	s_delay_alu instid0(VALU_DEP_3) | instskip(NEXT) | instid1(VALU_DEP_1)
	v_mul_lo_u32 v5, s16, v5
	v_add3_u32 v4, v4, v5, v6
	s_delay_alu instid0(VALU_DEP_1) | instskip(NEXT) | instid1(VALU_DEP_1)
	v_lshlrev_b64_e32 v[3:4], 3, v[3:4]
	v_add_co_u32 v3, vcc_lo, v21, v3
	s_wait_alu 0xfffd
	s_delay_alu instid0(VALU_DEP_2)
	v_add_co_ci_u32_e64 v4, null, v22, v4, vcc_lo
	global_load_b64 v[4:5], v[3:4], off
.LBB17_12:                              ;   in Loop: Header=BB17_10 Depth=3
	s_wait_alu 0xfffe
	s_or_b32 exec_lo, exec_lo, s28
	v_add_nc_u32_e32 v3, s23, v8
	s_wait_loadcnt 0x0
	ds_store_b64 v12, v[4:5]
	v_cndmask_b32_e64 v6, v25, v3, s3
	v_cndmask_b32_e64 v7, v3, v25, s3
	s_delay_alu instid0(VALU_DEP_1) | instskip(SKIP_2) | instid1(VALU_DEP_1)
	v_cmp_gt_i32_e32 vcc_lo, v6, v7
	s_wait_alu 0xfffd
	v_dual_cndmask_b32 v6, v3, v25 :: v_dual_cndmask_b32 v7, v25, v3
	v_max_i32_e32 v3, v6, v7
	s_delay_alu instid0(VALU_DEP_1)
	v_cmp_gt_i32_e32 vcc_lo, s30, v3
	v_mov_b32_e32 v3, 0
	s_and_saveexec_b32 s28, vcc_lo
	s_cbranch_execz .LBB17_14
; %bb.13:                               ;   in Loop: Header=BB17_10 Depth=3
	v_ashrrev_i32_e32 v4, 31, v7
	v_mul_lo_u32 v5, s9, v7
	v_mad_co_u64_u32 v[2:3], null, s8, v7, 0
	v_ashrrev_i32_e32 v7, 31, v6
	s_delay_alu instid0(VALU_DEP_4) | instskip(NEXT) | instid1(VALU_DEP_1)
	v_mul_lo_u32 v4, s8, v4
	v_add3_u32 v3, v3, v4, v5
	s_delay_alu instid0(VALU_DEP_3) | instskip(NEXT) | instid1(VALU_DEP_2)
	v_lshlrev_b64_e32 v[4:5], 3, v[6:7]
	v_lshlrev_b64_e32 v[2:3], 3, v[2:3]
	s_delay_alu instid0(VALU_DEP_1) | instskip(SKIP_1) | instid1(VALU_DEP_2)
	v_add_co_u32 v2, vcc_lo, s12, v2
	s_wait_alu 0xfffd
	v_add_co_ci_u32_e64 v3, null, s13, v3, vcc_lo
	s_delay_alu instid0(VALU_DEP_2) | instskip(SKIP_1) | instid1(VALU_DEP_2)
	v_add_co_u32 v2, vcc_lo, v2, v4
	s_wait_alu 0xfffd
	v_add_co_ci_u32_e64 v3, null, v3, v5, vcc_lo
	global_load_b64 v[2:3], v[2:3], off
.LBB17_14:                              ;   in Loop: Header=BB17_10 Depth=3
	s_wait_alu 0xfffe
	s_or_b32 exec_lo, exec_lo, s28
	s_wait_loadcnt 0x0
	ds_store_b64 v13, v[2:3]
	s_wait_dscnt 0x0
	s_barrier_signal -1
	s_barrier_wait -1
	global_inv scope:SCOPE_SE
	s_and_saveexec_b32 s28, s0
	s_cbranch_execz .LBB17_9
; %bb.15:                               ;   in Loop: Header=BB17_10 Depth=3
	ds_load_b128 v[2:5], v10
	ds_load_b128 v[26:29], v10 offset:16
	ds_load_b128 v[30:33], v10 offset:32
	;; [unrolled: 1-line block ×3, first 2 shown]
	ds_load_2addr_b64 v[38:41], v11 offset1:32
	s_wait_dscnt 0x0
	v_mul_f32_e32 v6, v39, v3
	s_delay_alu instid0(VALU_DEP_1) | instskip(SKIP_1) | instid1(VALU_DEP_1)
	v_fma_f32 v6, v38, v2, -v6
	v_mul_f32_e32 v3, v38, v3
	v_fmac_f32_e32 v3, v39, v2
	s_delay_alu instid0(VALU_DEP_3) | instskip(SKIP_2) | instid1(VALU_DEP_2)
	v_add_f32_e32 v2, 0, v6
	v_mul_f32_e32 v6, v41, v5
	v_mul_f32_e32 v5, v40, v5
	v_fma_f32 v6, v40, v4, -v6
	v_add_f32_e32 v3, 0, v3
	s_delay_alu instid0(VALU_DEP_2) | instskip(NEXT) | instid1(VALU_DEP_1)
	v_dual_fmac_f32 v5, v41, v4 :: v_dual_add_f32 v6, v2, v6
	v_add_f32_e32 v7, v3, v5
	ds_load_2addr_b64 v[2:5], v11 offset0:64 offset1:96
	s_wait_dscnt 0x0
	v_mul_f32_e32 v38, v3, v27
	s_delay_alu instid0(VALU_DEP_1) | instskip(SKIP_1) | instid1(VALU_DEP_1)
	v_fma_f32 v38, v2, v26, -v38
	v_mul_f32_e32 v2, v2, v27
	v_fmac_f32_e32 v2, v3, v26
	s_delay_alu instid0(VALU_DEP_3) | instskip(NEXT) | instid1(VALU_DEP_2)
	v_dual_add_f32 v3, v6, v38 :: v_dual_mul_f32 v6, v5, v29
	v_add_f32_e32 v2, v7, v2
	s_delay_alu instid0(VALU_DEP_2) | instskip(NEXT) | instid1(VALU_DEP_1)
	v_fma_f32 v6, v4, v28, -v6
	v_add_f32_e32 v6, v3, v6
	v_mul_f32_e32 v4, v4, v29
	s_delay_alu instid0(VALU_DEP_1) | instskip(NEXT) | instid1(VALU_DEP_1)
	v_fmac_f32_e32 v4, v5, v28
	v_add_f32_e32 v7, v2, v4
	ds_load_2addr_b64 v[2:5], v11 offset0:128 offset1:160
	s_wait_dscnt 0x0
	v_mul_f32_e32 v26, v3, v31
	s_delay_alu instid0(VALU_DEP_1) | instskip(SKIP_1) | instid1(VALU_DEP_1)
	v_fma_f32 v26, v2, v30, -v26
	v_mul_f32_e32 v2, v2, v31
	v_fmac_f32_e32 v2, v3, v30
	s_delay_alu instid0(VALU_DEP_3) | instskip(NEXT) | instid1(VALU_DEP_2)
	v_dual_add_f32 v3, v6, v26 :: v_dual_mul_f32 v6, v5, v33
	v_add_f32_e32 v2, v7, v2
	s_delay_alu instid0(VALU_DEP_2) | instskip(SKIP_1) | instid1(VALU_DEP_2)
	v_fma_f32 v6, v4, v32, -v6
	v_mul_f32_e32 v4, v4, v33
	v_add_f32_e32 v6, v3, v6
	s_delay_alu instid0(VALU_DEP_2) | instskip(NEXT) | instid1(VALU_DEP_1)
	v_fmac_f32_e32 v4, v5, v32
	v_add_f32_e32 v7, v2, v4
	ds_load_2addr_b64 v[2:5], v11 offset0:192 offset1:224
	s_wait_dscnt 0x0
	v_mul_f32_e32 v26, v3, v35
	s_delay_alu instid0(VALU_DEP_1) | instskip(SKIP_1) | instid1(VALU_DEP_1)
	v_fma_f32 v26, v2, v34, -v26
	v_mul_f32_e32 v2, v2, v35
	v_fmac_f32_e32 v2, v3, v34
	s_delay_alu instid0(VALU_DEP_3) | instskip(NEXT) | instid1(VALU_DEP_2)
	v_dual_add_f32 v3, v6, v26 :: v_dual_mul_f32 v6, v5, v37
	v_add_f32_e32 v2, v7, v2
	s_delay_alu instid0(VALU_DEP_2) | instskip(SKIP_1) | instid1(VALU_DEP_2)
	v_fma_f32 v6, v4, v36, -v6
	v_mul_f32_e32 v4, v4, v37
	v_add_f32_e32 v6, v3, v6
	s_delay_alu instid0(VALU_DEP_2) | instskip(NEXT) | instid1(VALU_DEP_1)
	v_fmac_f32_e32 v4, v5, v36
	v_add_f32_e32 v7, v2, v4
	ds_load_b128 v[2:5], v10 offset:64
	ds_load_2addr_b64 v[26:29], v18 offset1:32
	s_wait_dscnt 0x0
	v_mul_f32_e32 v30, v27, v3
	v_mul_f32_e32 v3, v26, v3
	s_delay_alu instid0(VALU_DEP_2) | instskip(NEXT) | instid1(VALU_DEP_2)
	v_fma_f32 v30, v26, v2, -v30
	v_fmac_f32_e32 v3, v27, v2
	s_delay_alu instid0(VALU_DEP_2) | instskip(SKIP_2) | instid1(VALU_DEP_4)
	v_add_f32_e32 v2, v6, v30
	v_mul_f32_e32 v6, v29, v5
	v_mul_f32_e32 v5, v28, v5
	v_add_f32_e32 v3, v7, v3
	s_delay_alu instid0(VALU_DEP_3) | instskip(NEXT) | instid1(VALU_DEP_1)
	v_fma_f32 v6, v28, v4, -v6
	v_dual_fmac_f32 v5, v29, v4 :: v_dual_add_f32 v6, v2, v6
	s_delay_alu instid0(VALU_DEP_1)
	v_add_f32_e32 v7, v3, v5
	ds_load_b128 v[2:5], v10 offset:80
	ds_load_2addr_b64 v[26:29], v18 offset0:64 offset1:96
	s_wait_dscnt 0x0
	v_mul_f32_e32 v30, v27, v3
	v_mul_f32_e32 v3, v26, v3
	s_delay_alu instid0(VALU_DEP_2) | instskip(NEXT) | instid1(VALU_DEP_2)
	v_fma_f32 v30, v26, v2, -v30
	v_fmac_f32_e32 v3, v27, v2
	s_delay_alu instid0(VALU_DEP_2) | instskip(SKIP_2) | instid1(VALU_DEP_4)
	v_add_f32_e32 v2, v6, v30
	v_mul_f32_e32 v6, v29, v5
	v_mul_f32_e32 v5, v28, v5
	v_add_f32_e32 v3, v7, v3
	s_delay_alu instid0(VALU_DEP_3) | instskip(NEXT) | instid1(VALU_DEP_1)
	v_fma_f32 v6, v28, v4, -v6
	v_dual_fmac_f32 v5, v29, v4 :: v_dual_add_f32 v6, v2, v6
	s_delay_alu instid0(VALU_DEP_1)
	v_add_f32_e32 v7, v3, v5
	ds_load_b128 v[2:5], v10 offset:96
	ds_load_2addr_b64 v[26:29], v18 offset0:128 offset1:160
	;; [unrolled: 18-line block ×3, first 2 shown]
	s_wait_dscnt 0x0
	v_mul_f32_e32 v30, v27, v3
	v_mul_f32_e32 v3, v26, v3
	s_delay_alu instid0(VALU_DEP_2) | instskip(NEXT) | instid1(VALU_DEP_2)
	v_fma_f32 v30, v26, v2, -v30
	v_fmac_f32_e32 v3, v27, v2
	s_delay_alu instid0(VALU_DEP_2) | instskip(SKIP_2) | instid1(VALU_DEP_4)
	v_add_f32_e32 v2, v6, v30
	v_mul_f32_e32 v6, v29, v5
	v_mul_f32_e32 v5, v28, v5
	v_add_f32_e32 v3, v7, v3
	s_delay_alu instid0(VALU_DEP_3) | instskip(NEXT) | instid1(VALU_DEP_1)
	v_fma_f32 v6, v28, v4, -v6
	v_dual_fmac_f32 v5, v29, v4 :: v_dual_add_f32 v6, v2, v6
	s_delay_alu instid0(VALU_DEP_1)
	v_add_f32_e32 v7, v3, v5
	ds_load_b128 v[2:5], v10 offset:128
	ds_load_2addr_b64 v[26:29], v19 offset1:32
	s_wait_dscnt 0x0
	v_mul_f32_e32 v30, v27, v3
	v_mul_f32_e32 v3, v26, v3
	s_delay_alu instid0(VALU_DEP_2) | instskip(NEXT) | instid1(VALU_DEP_2)
	v_fma_f32 v30, v26, v2, -v30
	v_fmac_f32_e32 v3, v27, v2
	s_delay_alu instid0(VALU_DEP_2) | instskip(SKIP_2) | instid1(VALU_DEP_4)
	v_add_f32_e32 v2, v6, v30
	v_mul_f32_e32 v6, v29, v5
	v_mul_f32_e32 v5, v28, v5
	v_add_f32_e32 v3, v7, v3
	s_delay_alu instid0(VALU_DEP_3) | instskip(NEXT) | instid1(VALU_DEP_1)
	v_fma_f32 v6, v28, v4, -v6
	v_dual_fmac_f32 v5, v29, v4 :: v_dual_add_f32 v6, v2, v6
	s_delay_alu instid0(VALU_DEP_1)
	v_add_f32_e32 v7, v3, v5
	ds_load_b128 v[2:5], v10 offset:144
	ds_load_2addr_b64 v[26:29], v19 offset0:64 offset1:96
	s_wait_dscnt 0x0
	v_mul_f32_e32 v30, v27, v3
	v_mul_f32_e32 v3, v26, v3
	s_delay_alu instid0(VALU_DEP_2) | instskip(NEXT) | instid1(VALU_DEP_2)
	v_fma_f32 v30, v26, v2, -v30
	v_fmac_f32_e32 v3, v27, v2
	s_delay_alu instid0(VALU_DEP_2) | instskip(SKIP_2) | instid1(VALU_DEP_4)
	v_add_f32_e32 v2, v6, v30
	v_mul_f32_e32 v6, v29, v5
	v_mul_f32_e32 v5, v28, v5
	v_add_f32_e32 v3, v7, v3
	s_delay_alu instid0(VALU_DEP_3) | instskip(NEXT) | instid1(VALU_DEP_1)
	v_fma_f32 v6, v28, v4, -v6
	v_dual_fmac_f32 v5, v29, v4 :: v_dual_add_f32 v6, v2, v6
	s_delay_alu instid0(VALU_DEP_1)
	v_add_f32_e32 v7, v3, v5
	ds_load_b128 v[2:5], v10 offset:160
	ds_load_2addr_b64 v[26:29], v19 offset0:128 offset1:160
	;; [unrolled: 18-line block ×3, first 2 shown]
	s_wait_dscnt 0x0
	v_mul_f32_e32 v30, v27, v3
	v_mul_f32_e32 v3, v26, v3
	s_delay_alu instid0(VALU_DEP_2) | instskip(NEXT) | instid1(VALU_DEP_2)
	v_fma_f32 v30, v26, v2, -v30
	v_fmac_f32_e32 v3, v27, v2
	s_delay_alu instid0(VALU_DEP_1) | instskip(SKIP_2) | instid1(VALU_DEP_2)
	v_dual_add_f32 v3, v7, v3 :: v_dual_add_f32 v2, v6, v30
	v_mul_f32_e32 v6, v29, v5
	v_mul_f32_e32 v5, v28, v5
	v_fma_f32 v6, v28, v4, -v6
	s_delay_alu instid0(VALU_DEP_2) | instskip(NEXT) | instid1(VALU_DEP_1)
	v_fmac_f32_e32 v5, v29, v4
	v_dual_add_f32 v7, v3, v5 :: v_dual_add_f32 v6, v2, v6
	ds_load_b128 v[2:5], v10 offset:192
	ds_load_2addr_b64 v[26:29], v20 offset1:32
	s_wait_dscnt 0x0
	v_mul_f32_e32 v30, v27, v3
	v_mul_f32_e32 v3, v26, v3
	s_delay_alu instid0(VALU_DEP_2) | instskip(NEXT) | instid1(VALU_DEP_2)
	v_fma_f32 v30, v26, v2, -v30
	v_fmac_f32_e32 v3, v27, v2
	s_delay_alu instid0(VALU_DEP_1) | instskip(SKIP_2) | instid1(VALU_DEP_2)
	v_dual_add_f32 v3, v7, v3 :: v_dual_add_f32 v2, v6, v30
	v_mul_f32_e32 v6, v29, v5
	v_mul_f32_e32 v5, v28, v5
	v_fma_f32 v6, v28, v4, -v6
	s_delay_alu instid0(VALU_DEP_2) | instskip(NEXT) | instid1(VALU_DEP_1)
	v_fmac_f32_e32 v5, v29, v4
	v_dual_add_f32 v7, v3, v5 :: v_dual_add_f32 v6, v2, v6
	ds_load_b128 v[2:5], v10 offset:208
	ds_load_2addr_b64 v[26:29], v20 offset0:64 offset1:96
	s_wait_dscnt 0x0
	v_mul_f32_e32 v30, v27, v3
	v_mul_f32_e32 v3, v26, v3
	s_delay_alu instid0(VALU_DEP_2) | instskip(NEXT) | instid1(VALU_DEP_2)
	v_fma_f32 v30, v26, v2, -v30
	v_fmac_f32_e32 v3, v27, v2
	s_delay_alu instid0(VALU_DEP_1) | instskip(SKIP_2) | instid1(VALU_DEP_2)
	v_dual_add_f32 v3, v7, v3 :: v_dual_add_f32 v2, v6, v30
	v_mul_f32_e32 v6, v29, v5
	v_mul_f32_e32 v5, v28, v5
	v_fma_f32 v6, v28, v4, -v6
	s_delay_alu instid0(VALU_DEP_1) | instskip(NEXT) | instid1(VALU_DEP_1)
	v_dual_fmac_f32 v5, v29, v4 :: v_dual_add_f32 v6, v2, v6
	v_add_f32_e32 v7, v3, v5
	ds_load_b128 v[2:5], v10 offset:224
	ds_load_2addr_b64 v[26:29], v20 offset0:128 offset1:160
	s_wait_dscnt 0x0
	v_mul_f32_e32 v30, v27, v3
	v_mul_f32_e32 v3, v26, v3
	s_delay_alu instid0(VALU_DEP_2) | instskip(NEXT) | instid1(VALU_DEP_2)
	v_fma_f32 v30, v26, v2, -v30
	v_fmac_f32_e32 v3, v27, v2
	s_delay_alu instid0(VALU_DEP_1) | instskip(SKIP_2) | instid1(VALU_DEP_2)
	v_dual_add_f32 v2, v6, v30 :: v_dual_add_f32 v3, v7, v3
	v_mul_f32_e32 v6, v29, v5
	v_mul_f32_e32 v5, v28, v5
	v_fma_f32 v6, v28, v4, -v6
	s_delay_alu instid0(VALU_DEP_1) | instskip(NEXT) | instid1(VALU_DEP_1)
	v_dual_fmac_f32 v5, v29, v4 :: v_dual_add_f32 v6, v2, v6
	v_add_f32_e32 v7, v3, v5
	ds_load_b128 v[2:5], v10 offset:240
	ds_load_2addr_b64 v[26:29], v20 offset0:192 offset1:224
	s_wait_dscnt 0x0
	v_mul_f32_e32 v30, v27, v3
	v_mul_f32_e32 v3, v26, v3
	s_delay_alu instid0(VALU_DEP_2) | instskip(NEXT) | instid1(VALU_DEP_2)
	v_fma_f32 v30, v26, v2, -v30
	v_fmac_f32_e32 v3, v27, v2
	s_delay_alu instid0(VALU_DEP_2) | instskip(SKIP_2) | instid1(VALU_DEP_2)
	v_add_f32_e32 v2, v6, v30
	v_mul_f32_e32 v6, v29, v5
	v_mul_f32_e32 v5, v28, v5
	v_fma_f32 v6, v28, v4, -v6
	v_add_f32_e32 v3, v7, v3
	s_delay_alu instid0(VALU_DEP_2) | instskip(NEXT) | instid1(VALU_DEP_1)
	v_dual_fmac_f32 v5, v29, v4 :: v_dual_add_f32 v4, v2, v6
	v_add_f32_e32 v5, v3, v5
	s_delay_alu instid0(VALU_DEP_1) | instskip(NEXT) | instid1(VALU_DEP_1)
	v_dual_mul_f32 v3, s33, v4 :: v_dual_mul_f32 v2, s33, v5
	v_fmac_f32_e32 v3, s31, v5
	s_delay_alu instid0(VALU_DEP_2)
	v_fma_f32 v2, s31, v4, -v2
	global_load_b64 v[4:5], v[0:1], off
	s_wait_loadcnt 0x0
	v_dual_add_f32 v2, v4, v2 :: v_dual_add_f32 v3, v5, v3
	global_store_b64 v[0:1], v[2:3], off
	s_branch .LBB17_9
.LBB17_16:
	s_endpgm
	.section	.rodata,"a",@progbits
	.p2align	6, 0x0
	.amdhsa_kernel _ZL24rocblas_symm_hemm_kernelILb0ELb1ELi32E19rocblas_complex_numIfEPKS1_PS1_EvbiiT2_T3_lllS6_lllT4_llli
		.amdhsa_group_segment_fixed_size 16384
		.amdhsa_private_segment_fixed_size 0
		.amdhsa_kernarg_size 384
		.amdhsa_user_sgpr_count 2
		.amdhsa_user_sgpr_dispatch_ptr 0
		.amdhsa_user_sgpr_queue_ptr 0
		.amdhsa_user_sgpr_kernarg_segment_ptr 1
		.amdhsa_user_sgpr_dispatch_id 0
		.amdhsa_user_sgpr_private_segment_size 0
		.amdhsa_wavefront_size32 1
		.amdhsa_uses_dynamic_stack 0
		.amdhsa_enable_private_segment 0
		.amdhsa_system_sgpr_workgroup_id_x 1
		.amdhsa_system_sgpr_workgroup_id_y 1
		.amdhsa_system_sgpr_workgroup_id_z 1
		.amdhsa_system_sgpr_workgroup_info 0
		.amdhsa_system_vgpr_workitem_id 1
		.amdhsa_next_free_vgpr 42
		.amdhsa_next_free_sgpr 37
		.amdhsa_reserve_vcc 1
		.amdhsa_float_round_mode_32 0
		.amdhsa_float_round_mode_16_64 0
		.amdhsa_float_denorm_mode_32 3
		.amdhsa_float_denorm_mode_16_64 3
		.amdhsa_fp16_overflow 0
		.amdhsa_workgroup_processor_mode 1
		.amdhsa_memory_ordered 1
		.amdhsa_forward_progress 1
		.amdhsa_inst_pref_size 20
		.amdhsa_round_robin_scheduling 0
		.amdhsa_exception_fp_ieee_invalid_op 0
		.amdhsa_exception_fp_denorm_src 0
		.amdhsa_exception_fp_ieee_div_zero 0
		.amdhsa_exception_fp_ieee_overflow 0
		.amdhsa_exception_fp_ieee_underflow 0
		.amdhsa_exception_fp_ieee_inexact 0
		.amdhsa_exception_int_div_zero 0
	.end_amdhsa_kernel
	.section	.text._ZL24rocblas_symm_hemm_kernelILb0ELb1ELi32E19rocblas_complex_numIfEPKS1_PS1_EvbiiT2_T3_lllS6_lllT4_llli,"axG",@progbits,_ZL24rocblas_symm_hemm_kernelILb0ELb1ELi32E19rocblas_complex_numIfEPKS1_PS1_EvbiiT2_T3_lllS6_lllT4_llli,comdat
.Lfunc_end17:
	.size	_ZL24rocblas_symm_hemm_kernelILb0ELb1ELi32E19rocblas_complex_numIfEPKS1_PS1_EvbiiT2_T3_lllS6_lllT4_llli, .Lfunc_end17-_ZL24rocblas_symm_hemm_kernelILb0ELb1ELi32E19rocblas_complex_numIfEPKS1_PS1_EvbiiT2_T3_lllS6_lllT4_llli
                                        ; -- End function
	.set _ZL24rocblas_symm_hemm_kernelILb0ELb1ELi32E19rocblas_complex_numIfEPKS1_PS1_EvbiiT2_T3_lllS6_lllT4_llli.num_vgpr, 42
	.set _ZL24rocblas_symm_hemm_kernelILb0ELb1ELi32E19rocblas_complex_numIfEPKS1_PS1_EvbiiT2_T3_lllS6_lllT4_llli.num_agpr, 0
	.set _ZL24rocblas_symm_hemm_kernelILb0ELb1ELi32E19rocblas_complex_numIfEPKS1_PS1_EvbiiT2_T3_lllS6_lllT4_llli.numbered_sgpr, 37
	.set _ZL24rocblas_symm_hemm_kernelILb0ELb1ELi32E19rocblas_complex_numIfEPKS1_PS1_EvbiiT2_T3_lllS6_lllT4_llli.num_named_barrier, 0
	.set _ZL24rocblas_symm_hemm_kernelILb0ELb1ELi32E19rocblas_complex_numIfEPKS1_PS1_EvbiiT2_T3_lllS6_lllT4_llli.private_seg_size, 0
	.set _ZL24rocblas_symm_hemm_kernelILb0ELb1ELi32E19rocblas_complex_numIfEPKS1_PS1_EvbiiT2_T3_lllS6_lllT4_llli.uses_vcc, 1
	.set _ZL24rocblas_symm_hemm_kernelILb0ELb1ELi32E19rocblas_complex_numIfEPKS1_PS1_EvbiiT2_T3_lllS6_lllT4_llli.uses_flat_scratch, 0
	.set _ZL24rocblas_symm_hemm_kernelILb0ELb1ELi32E19rocblas_complex_numIfEPKS1_PS1_EvbiiT2_T3_lllS6_lllT4_llli.has_dyn_sized_stack, 0
	.set _ZL24rocblas_symm_hemm_kernelILb0ELb1ELi32E19rocblas_complex_numIfEPKS1_PS1_EvbiiT2_T3_lllS6_lllT4_llli.has_recursion, 0
	.set _ZL24rocblas_symm_hemm_kernelILb0ELb1ELi32E19rocblas_complex_numIfEPKS1_PS1_EvbiiT2_T3_lllS6_lllT4_llli.has_indirect_call, 0
	.section	.AMDGPU.csdata,"",@progbits
; Kernel info:
; codeLenInByte = 2548
; TotalNumSgprs: 39
; NumVgprs: 42
; ScratchSize: 0
; MemoryBound: 0
; FloatMode: 240
; IeeeMode: 1
; LDSByteSize: 16384 bytes/workgroup (compile time only)
; SGPRBlocks: 0
; VGPRBlocks: 5
; NumSGPRsForWavesPerEU: 39
; NumVGPRsForWavesPerEU: 42
; Occupancy: 16
; WaveLimiterHint : 0
; COMPUTE_PGM_RSRC2:SCRATCH_EN: 0
; COMPUTE_PGM_RSRC2:USER_SGPR: 2
; COMPUTE_PGM_RSRC2:TRAP_HANDLER: 0
; COMPUTE_PGM_RSRC2:TGID_X_EN: 1
; COMPUTE_PGM_RSRC2:TGID_Y_EN: 1
; COMPUTE_PGM_RSRC2:TGID_Z_EN: 1
; COMPUTE_PGM_RSRC2:TIDIG_COMP_CNT: 1
	.section	.text._ZL25rocblas_symm_scale_kernelILi128ELi8EPK19rocblas_complex_numIdEPS1_EviiT1_T2_llli,"axG",@progbits,_ZL25rocblas_symm_scale_kernelILi128ELi8EPK19rocblas_complex_numIdEPS1_EviiT1_T2_llli,comdat
	.globl	_ZL25rocblas_symm_scale_kernelILi128ELi8EPK19rocblas_complex_numIdEPS1_EviiT1_T2_llli ; -- Begin function _ZL25rocblas_symm_scale_kernelILi128ELi8EPK19rocblas_complex_numIdEPS1_EviiT1_T2_llli
	.p2align	8
	.type	_ZL25rocblas_symm_scale_kernelILi128ELi8EPK19rocblas_complex_numIdEPS1_EviiT1_T2_llli,@function
_ZL25rocblas_symm_scale_kernelILi128ELi8EPK19rocblas_complex_numIdEPS1_EviiT1_T2_llli: ; @_ZL25rocblas_symm_scale_kernelILi128ELi8EPK19rocblas_complex_numIdEPS1_EviiT1_T2_llli
; %bb.0:
	s_load_b256 s[4:11], s[0:1], 0x8
	s_wait_kmcnt 0x0
	s_load_b128 s[12:15], s[4:5], 0x0
	s_wait_kmcnt 0x0
	v_cmp_eq_f64_e64 s2, s[12:13], 1.0
	v_cmp_eq_f64_e64 s3, s[14:15], 0
	s_and_b32 s2, s2, s3
	s_delay_alu instid0(SALU_CYCLE_1)
	s_and_b32 vcc_lo, exec_lo, s2
	s_cbranch_vccnz .LBB18_9
; %bb.1:
	s_load_b32 s18, s[0:1], 0x30
	s_lshr_b32 s19, ttmp7, 16
	s_wait_kmcnt 0x0
	s_cmp_ge_u32 s19, s18
	s_cbranch_scc1 .LBB18_9
; %bb.2:
	v_bfe_u32 v1, v0, 10, 10
	s_and_b32 s2, ttmp7, 0xffff
	v_cmp_neq_f64_e64 s20, s[12:13], 0
	v_cmp_neq_f64_e64 s21, s[14:15], 0
	s_clause 0x1
	s_load_b64 s[16:17], s[0:1], 0x0
	s_load_b64 s[22:23], s[0:1], 0x28
	v_lshl_add_u32 v4, s2, 3, v1
	v_dual_mov_b32 v5, 0 :: v_dual_and_b32 v0, 0x3ff, v0
	s_add_nc_u64 s[2:3], s[0:1], 56
	s_lshl_b64 s[0:1], s[8:9], 4
	s_delay_alu instid0(VALU_DEP_2) | instskip(NEXT) | instid1(VALU_DEP_2)
	v_mad_co_u64_u32 v[1:2], null, s10, v4, 0
	v_lshl_add_u32 v6, ttmp9, 7, v0
	v_mov_b32_e32 v7, v5
	s_lshl_b64 s[8:9], s[10:11], 4
	s_delay_alu instid0(VALU_DEP_3)
	v_mad_co_u64_u32 v[2:3], null, s11, v4, v[2:3]
	s_mov_b32 s11, 0
	s_wait_kmcnt 0x0
	s_ashr_i32 s5, s17, 31
	s_mov_b32 s4, s17
	v_lshlrev_b64_e32 v[0:1], 4, v[1:2]
	v_lshlrev_b64_e32 v[2:3], 4, v[6:7]
	s_delay_alu instid0(VALU_DEP_2) | instskip(NEXT) | instid1(VALU_DEP_1)
	v_add_co_u32 v0, vcc_lo, v0, s0
	v_add_co_ci_u32_e64 v1, null, s1, v1, vcc_lo
	v_cmp_gt_i64_e32 vcc_lo, s[4:5], v[4:5]
	s_delay_alu instid0(VALU_DEP_3) | instskip(SKIP_1) | instid1(VALU_DEP_3)
	v_add_co_u32 v0, s0, v0, v2
	s_wait_alu 0xf1ff
	v_add_co_ci_u32_e64 v1, null, v1, v3, s0
	v_cmp_gt_u32_e64 s0, s16, v6
	s_delay_alu instid0(VALU_DEP_3) | instskip(SKIP_1) | instid1(VALU_DEP_3)
	v_add_co_u32 v0, s1, s6, v0
	s_wait_alu 0xf1ff
	v_add_co_ci_u32_e64 v1, null, s7, v1, s1
	s_and_b32 s1, s0, vcc_lo
	v_add_co_u32 v6, vcc_lo, v0, 8
	s_wait_alu 0xfffd
	v_add_co_ci_u32_e64 v7, null, 0, v1, vcc_lo
	s_or_b32 s20, s20, s21
	s_lshl_b64 s[6:7], s[22:23], 4
	s_branch .LBB18_4
.LBB18_3:                               ;   in Loop: Header=BB18_4 Depth=1
	s_or_b32 exec_lo, exec_lo, s21
	s_add_co_i32 s19, s19, 0x10000
	s_wait_alu 0xfffe
	s_cmp_lt_u32 s19, s18
	s_cbranch_scc0 .LBB18_9
.LBB18_4:                               ; =>This Loop Header: Depth=1
                                        ;     Child Loop BB18_7 Depth 2
	s_wait_alu 0xfffe
	s_and_saveexec_b32 s21, s1
	s_cbranch_execz .LBB18_3
; %bb.5:                                ;   in Loop: Header=BB18_4 Depth=1
	v_mad_co_u64_u32 v[8:9], null, s6, s19, v[6:7]
	s_load_b32 s0, s[2:3], 0x4
	s_mov_b32 s22, 0
	v_dual_mov_b32 v11, v5 :: v_dual_mov_b32 v10, v4
	v_mov_b32_e32 v0, v9
	s_delay_alu instid0(VALU_DEP_1) | instskip(NEXT) | instid1(VALU_DEP_1)
	v_mad_co_u64_u32 v[0:1], null, s7, s19, v[0:1]
	v_mov_b32_e32 v9, v0
	s_wait_kmcnt 0x0
	s_lshl_b32 s10, s0, 3
	s_wait_alu 0xfffe
	s_mul_u64 s[16:17], s[8:9], s[10:11]
	s_branch .LBB18_7
.LBB18_6:                               ;   in Loop: Header=BB18_7 Depth=2
	v_add_co_u32 v10, vcc_lo, v10, s10
	s_wait_alu 0xfffd
	v_add_co_ci_u32_e64 v11, null, 0, v11, vcc_lo
	global_store_b128 v[8:9], v[0:3], off offset:-8
	v_add_co_u32 v8, s0, v8, s16
	v_cmp_le_i64_e32 vcc_lo, s[4:5], v[10:11]
	s_wait_alu 0xf1ff
	v_add_co_ci_u32_e64 v9, null, s17, v9, s0
	s_or_b32 s22, vcc_lo, s22
	s_delay_alu instid0(SALU_CYCLE_1)
	s_and_not1_b32 exec_lo, exec_lo, s22
	s_cbranch_execz .LBB18_3
.LBB18_7:                               ;   Parent Loop BB18_4 Depth=1
                                        ; =>  This Inner Loop Header: Depth=2
	v_mov_b32_e32 v2, 0
	v_dual_mov_b32 v3, 0 :: v_dual_mov_b32 v0, 0
	v_mov_b32_e32 v1, 0
	s_and_not1_b32 vcc_lo, exec_lo, s20
	s_wait_alu 0xfffe
	s_cbranch_vccnz .LBB18_6
; %bb.8:                                ;   in Loop: Header=BB18_7 Depth=2
	global_load_b128 v[12:15], v[8:9], off offset:-8
	s_wait_loadcnt 0x0
	v_mul_f64_e32 v[0:1], s[14:15], v[14:15]
	v_mul_f64_e32 v[2:3], s[12:13], v[14:15]
	s_delay_alu instid0(VALU_DEP_2) | instskip(NEXT) | instid1(VALU_DEP_2)
	v_fma_f64 v[0:1], s[12:13], v[12:13], -v[0:1]
	v_fma_f64 v[2:3], s[14:15], v[12:13], v[2:3]
	s_branch .LBB18_6
.LBB18_9:
	s_endpgm
	.section	.rodata,"a",@progbits
	.p2align	6, 0x0
	.amdhsa_kernel _ZL25rocblas_symm_scale_kernelILi128ELi8EPK19rocblas_complex_numIdEPS1_EviiT1_T2_llli
		.amdhsa_group_segment_fixed_size 0
		.amdhsa_private_segment_fixed_size 0
		.amdhsa_kernarg_size 312
		.amdhsa_user_sgpr_count 2
		.amdhsa_user_sgpr_dispatch_ptr 0
		.amdhsa_user_sgpr_queue_ptr 0
		.amdhsa_user_sgpr_kernarg_segment_ptr 1
		.amdhsa_user_sgpr_dispatch_id 0
		.amdhsa_user_sgpr_private_segment_size 0
		.amdhsa_wavefront_size32 1
		.amdhsa_uses_dynamic_stack 0
		.amdhsa_enable_private_segment 0
		.amdhsa_system_sgpr_workgroup_id_x 1
		.amdhsa_system_sgpr_workgroup_id_y 1
		.amdhsa_system_sgpr_workgroup_id_z 1
		.amdhsa_system_sgpr_workgroup_info 0
		.amdhsa_system_vgpr_workitem_id 1
		.amdhsa_next_free_vgpr 16
		.amdhsa_next_free_sgpr 24
		.amdhsa_reserve_vcc 1
		.amdhsa_float_round_mode_32 0
		.amdhsa_float_round_mode_16_64 0
		.amdhsa_float_denorm_mode_32 3
		.amdhsa_float_denorm_mode_16_64 3
		.amdhsa_fp16_overflow 0
		.amdhsa_workgroup_processor_mode 1
		.amdhsa_memory_ordered 1
		.amdhsa_forward_progress 1
		.amdhsa_inst_pref_size 5
		.amdhsa_round_robin_scheduling 0
		.amdhsa_exception_fp_ieee_invalid_op 0
		.amdhsa_exception_fp_denorm_src 0
		.amdhsa_exception_fp_ieee_div_zero 0
		.amdhsa_exception_fp_ieee_overflow 0
		.amdhsa_exception_fp_ieee_underflow 0
		.amdhsa_exception_fp_ieee_inexact 0
		.amdhsa_exception_int_div_zero 0
	.end_amdhsa_kernel
	.section	.text._ZL25rocblas_symm_scale_kernelILi128ELi8EPK19rocblas_complex_numIdEPS1_EviiT1_T2_llli,"axG",@progbits,_ZL25rocblas_symm_scale_kernelILi128ELi8EPK19rocblas_complex_numIdEPS1_EviiT1_T2_llli,comdat
.Lfunc_end18:
	.size	_ZL25rocblas_symm_scale_kernelILi128ELi8EPK19rocblas_complex_numIdEPS1_EviiT1_T2_llli, .Lfunc_end18-_ZL25rocblas_symm_scale_kernelILi128ELi8EPK19rocblas_complex_numIdEPS1_EviiT1_T2_llli
                                        ; -- End function
	.set _ZL25rocblas_symm_scale_kernelILi128ELi8EPK19rocblas_complex_numIdEPS1_EviiT1_T2_llli.num_vgpr, 16
	.set _ZL25rocblas_symm_scale_kernelILi128ELi8EPK19rocblas_complex_numIdEPS1_EviiT1_T2_llli.num_agpr, 0
	.set _ZL25rocblas_symm_scale_kernelILi128ELi8EPK19rocblas_complex_numIdEPS1_EviiT1_T2_llli.numbered_sgpr, 24
	.set _ZL25rocblas_symm_scale_kernelILi128ELi8EPK19rocblas_complex_numIdEPS1_EviiT1_T2_llli.num_named_barrier, 0
	.set _ZL25rocblas_symm_scale_kernelILi128ELi8EPK19rocblas_complex_numIdEPS1_EviiT1_T2_llli.private_seg_size, 0
	.set _ZL25rocblas_symm_scale_kernelILi128ELi8EPK19rocblas_complex_numIdEPS1_EviiT1_T2_llli.uses_vcc, 1
	.set _ZL25rocblas_symm_scale_kernelILi128ELi8EPK19rocblas_complex_numIdEPS1_EviiT1_T2_llli.uses_flat_scratch, 0
	.set _ZL25rocblas_symm_scale_kernelILi128ELi8EPK19rocblas_complex_numIdEPS1_EviiT1_T2_llli.has_dyn_sized_stack, 0
	.set _ZL25rocblas_symm_scale_kernelILi128ELi8EPK19rocblas_complex_numIdEPS1_EviiT1_T2_llli.has_recursion, 0
	.set _ZL25rocblas_symm_scale_kernelILi128ELi8EPK19rocblas_complex_numIdEPS1_EviiT1_T2_llli.has_indirect_call, 0
	.section	.AMDGPU.csdata,"",@progbits
; Kernel info:
; codeLenInByte = 596
; TotalNumSgprs: 26
; NumVgprs: 16
; ScratchSize: 0
; MemoryBound: 0
; FloatMode: 240
; IeeeMode: 1
; LDSByteSize: 0 bytes/workgroup (compile time only)
; SGPRBlocks: 0
; VGPRBlocks: 1
; NumSGPRsForWavesPerEU: 26
; NumVGPRsForWavesPerEU: 16
; Occupancy: 16
; WaveLimiterHint : 0
; COMPUTE_PGM_RSRC2:SCRATCH_EN: 0
; COMPUTE_PGM_RSRC2:USER_SGPR: 2
; COMPUTE_PGM_RSRC2:TRAP_HANDLER: 0
; COMPUTE_PGM_RSRC2:TGID_X_EN: 1
; COMPUTE_PGM_RSRC2:TGID_Y_EN: 1
; COMPUTE_PGM_RSRC2:TGID_Z_EN: 1
; COMPUTE_PGM_RSRC2:TIDIG_COMP_CNT: 1
	.section	.text._ZL24rocblas_symm_hemm_kernelILb0ELb0ELi32EPK19rocblas_complex_numIdES3_PS1_EvbiiT2_T3_lllS6_lllT4_llli,"axG",@progbits,_ZL24rocblas_symm_hemm_kernelILb0ELb0ELi32EPK19rocblas_complex_numIdES3_PS1_EvbiiT2_T3_lllS6_lllT4_llli,comdat
	.globl	_ZL24rocblas_symm_hemm_kernelILb0ELb0ELi32EPK19rocblas_complex_numIdES3_PS1_EvbiiT2_T3_lllS6_lllT4_llli ; -- Begin function _ZL24rocblas_symm_hemm_kernelILb0ELb0ELi32EPK19rocblas_complex_numIdES3_PS1_EvbiiT2_T3_lllS6_lllT4_llli
	.p2align	8
	.type	_ZL24rocblas_symm_hemm_kernelILb0ELb0ELi32EPK19rocblas_complex_numIdES3_PS1_EvbiiT2_T3_lllS6_lllT4_llli,@function
_ZL24rocblas_symm_hemm_kernelILb0ELb0ELi32EPK19rocblas_complex_numIdES3_PS1_EvbiiT2_T3_lllS6_lllT4_llli: ; @_ZL24rocblas_symm_hemm_kernelILb0ELb0ELi32EPK19rocblas_complex_numIdES3_PS1_EvbiiT2_T3_lllS6_lllT4_llli
; %bb.0:
	s_load_b512 s[4:19], s[0:1], 0x10
	s_wait_kmcnt 0x0
	s_load_b128 s[28:31], s[4:5], 0x0
	s_wait_kmcnt 0x0
	v_cmp_eq_f64_e64 s2, s[28:29], 0
	v_cmp_eq_f64_e64 s3, s[30:31], 0
	s_and_b32 s2, s2, s3
	s_delay_alu instid0(SALU_CYCLE_1)
	s_and_b32 vcc_lo, exec_lo, s2
	s_cbranch_vccnz .LBB19_18
; %bb.1:
	s_load_b32 s33, s[0:1], 0x78
	s_lshr_b32 s4, ttmp7, 16
	s_wait_kmcnt 0x0
	s_cmp_ge_u32 s4, s33
	s_cbranch_scc1 .LBB19_18
; %bb.2:
	s_clause 0x1
	s_load_b96 s[36:38], s[0:1], 0x0
	s_load_b256 s[20:27], s[0:1], 0x50
	v_and_b32_e32 v14, 0x3ff, v0
	v_bfe_u32 v13, v0, 10, 10
	s_lshl_b64 s[2:3], s[8:9], 4
	s_load_b64 s[8:9], s[0:1], 0x70
	s_lshl_b64 s[16:17], s[16:17], 4
	v_lshl_add_u32 v8, ttmp9, 5, v14
	v_lshlrev_b32_e32 v0, 4, v13
	v_lshlrev_b32_e32 v15, 9, v14
	s_add_nc_u64 s[6:7], s[6:7], s[2:3]
	s_add_nc_u64 s[14:15], s[14:15], s[16:17]
	v_ashrrev_i32_e32 v9, 31, v8
	v_or_b32_e32 v16, 0x4000, v0
	v_add_nc_u32_e32 v17, v15, v0
	s_add_nc_u64 s[16:17], s[0:1], 0x80
	s_delay_alu instid0(VALU_DEP_3) | instskip(NEXT) | instid1(VALU_DEP_3)
	v_lshlrev_b64_e32 v[0:1], 4, v[8:9]
	v_add_nc_u32_e32 v18, v16, v15
	s_wait_kmcnt 0x0
	s_bitcmp1_b32 s36, 0
	v_cmp_gt_i32_e64 s3, s37, v8
	s_cselect_b32 s2, -1, 0
	s_add_co_i32 s5, s38, -1
	s_lshl_b64 s[24:25], s[24:25], 4
	s_ashr_i32 s34, s5, 31
	s_add_nc_u64 s[22:23], s[22:23], s[24:25]
	s_lshr_b32 s34, s34, 27
	v_add_co_u32 v19, vcc_lo, s22, v0
	s_add_co_i32 s5, s5, s34
	s_and_b32 s34, ttmp7, 0xffff
	s_ashr_i32 s35, s5, 5
	v_add_co_ci_u32_e64 v20, null, s23, v1, vcc_lo
	s_cmp_le_i32 s34, s35
	s_mov_b32 s5, 0
	s_cselect_b32 s36, -1, 0
	s_cmp_gt_i32 s37, 0
	s_cselect_b32 s39, -1, 0
	s_branch .LBB19_4
.LBB19_3:                               ;   in Loop: Header=BB19_4 Depth=1
	s_add_co_i32 s4, s4, 0x10000
	s_delay_alu instid0(SALU_CYCLE_1)
	s_cmp_lt_u32 s4, s33
	s_cbranch_scc0 .LBB19_18
.LBB19_4:                               ; =>This Loop Header: Depth=1
                                        ;     Child Loop BB19_7 Depth 2
                                        ;       Child Loop BB19_10 Depth 3
                                        ;         Child Loop BB19_16 Depth 4
	s_wait_alu 0xfffe
	s_and_not1_b32 vcc_lo, exec_lo, s36
	s_wait_alu 0xfffe
	s_cbranch_vccnz .LBB19_3
; %bb.5:                                ;   in Loop: Header=BB19_4 Depth=1
	s_load_b32 s1, s[16:17], 0x4
	s_mul_u64 s[40:41], s[8:9], s[4:5]
	s_mul_u64 s[22:23], s[12:13], s[4:5]
	s_wait_alu 0xfffe
	s_lshl_b64 s[40:41], s[40:41], 4
	s_mul_u64 s[24:25], s[20:21], s[4:5]
	s_wait_alu 0xfffe
	v_add_co_u32 v21, vcc_lo, v19, s40
	s_wait_alu 0xfffd
	v_add_co_ci_u32_e64 v22, null, s41, v20, vcc_lo
	s_lshl_b64 s[22:23], s[22:23], 4
	s_lshl_b64 s[24:25], s[24:25], 4
	s_wait_alu 0xfffe
	s_add_nc_u64 s[22:23], s[6:7], s[22:23]
	s_add_nc_u64 s[24:25], s[14:15], s[24:25]
	s_mov_b32 s40, s34
	s_branch .LBB19_7
.LBB19_6:                               ;   in Loop: Header=BB19_7 Depth=2
	s_wait_kmcnt 0x0
	s_add_co_i32 s40, s40, s1
	s_wait_alu 0xfffe
	s_cmp_gt_i32 s40, s35
	s_cbranch_scc1 .LBB19_3
.LBB19_7:                               ;   Parent Loop BB19_4 Depth=1
                                        ; =>  This Loop Header: Depth=2
                                        ;       Child Loop BB19_10 Depth 3
                                        ;         Child Loop BB19_16 Depth 4
	s_and_not1_b32 vcc_lo, exec_lo, s39
	s_wait_alu 0xfffe
	s_cbranch_vccnz .LBB19_6
; %bb.8:                                ;   in Loop: Header=BB19_7 Depth=2
	v_lshl_add_u32 v4, s40, 5, v13
	s_mov_b32 s42, 0
	s_delay_alu instid0(VALU_DEP_1) | instskip(SKIP_3) | instid1(VALU_DEP_4)
	v_ashrrev_i32_e32 v5, 31, v4
	v_mul_lo_u32 v6, s19, v4
	v_mad_co_u64_u32 v[0:1], null, s18, v4, 0
	v_mul_lo_u32 v9, s27, v4
	v_mul_lo_u32 v7, s18, v5
	v_mad_co_u64_u32 v[2:3], null, s26, v4, 0
	v_mul_lo_u32 v5, s26, v5
	v_cmp_gt_i32_e32 vcc_lo, s38, v4
	s_delay_alu instid0(VALU_DEP_4) | instskip(SKIP_1) | instid1(VALU_DEP_3)
	v_add3_u32 v1, v1, v7, v6
	s_and_b32 s41, s3, vcc_lo
	v_add3_u32 v3, v3, v5, v9
	s_delay_alu instid0(VALU_DEP_2) | instskip(NEXT) | instid1(VALU_DEP_2)
	v_lshlrev_b64_e32 v[0:1], 4, v[0:1]
	v_lshlrev_b64_e32 v[2:3], 4, v[2:3]
	s_delay_alu instid0(VALU_DEP_2) | instskip(SKIP_1) | instid1(VALU_DEP_3)
	v_add_co_u32 v23, s0, s24, v0
	s_wait_alu 0xf1ff
	v_add_co_ci_u32_e64 v24, null, s25, v1, s0
	s_delay_alu instid0(VALU_DEP_3)
	v_add_co_u32 v9, s0, v21, v2
	s_wait_alu 0xf1ff
	v_add_co_ci_u32_e64 v10, null, v22, v3, s0
	s_branch .LBB19_10
.LBB19_9:                               ;   in Loop: Header=BB19_10 Depth=3
	s_wait_alu 0xfffe
	s_or_b32 exec_lo, exec_lo, s0
	s_add_co_i32 s42, s42, 32
	s_wait_loadcnt 0x0
	s_wait_storecnt 0x0
	s_wait_alu 0xfffe
	s_cmp_ge_i32 s42, s37
	s_barrier_signal -1
	s_barrier_wait -1
	global_inv scope:SCOPE_SE
	s_cbranch_scc1 .LBB19_6
.LBB19_10:                              ;   Parent Loop BB19_4 Depth=1
                                        ;     Parent Loop BB19_7 Depth=2
                                        ; =>    This Loop Header: Depth=3
                                        ;         Child Loop BB19_16 Depth 4
	s_wait_alu 0xfffe
	v_add_nc_u32_e32 v0, s42, v13
	v_mov_b32_e32 v4, 0
	v_mov_b32_e32 v5, 0
	s_mov_b32 s43, exec_lo
	v_mov_b32_e32 v6, 0
	v_cndmask_b32_e64 v1, v0, v8, s2
	v_cndmask_b32_e64 v2, v8, v0, s2
	v_mov_b32_e32 v7, 0
	s_delay_alu instid0(VALU_DEP_2) | instskip(SKIP_1) | instid1(VALU_DEP_1)
	v_cmp_gt_i32_e64 s0, v1, v2
	s_wait_alu 0xf1ff
	v_cndmask_b32_e64 v2, v8, v0, s0
	v_cndmask_b32_e64 v3, v0, v8, s0
	v_mov_b32_e32 v0, 0
	v_mov_b32_e32 v1, 0
	s_delay_alu instid0(VALU_DEP_3) | instskip(NEXT) | instid1(VALU_DEP_1)
	v_max_i32_e32 v11, v2, v3
	v_cmpx_gt_i32_e64 s37, v11
	s_cbranch_execz .LBB19_12
; %bb.11:                               ;   in Loop: Header=BB19_10 Depth=3
	v_ashrrev_i32_e32 v6, 31, v3
	v_mul_lo_u32 v7, s11, v3
	v_mad_co_u64_u32 v[4:5], null, s10, v3, 0
	s_delay_alu instid0(VALU_DEP_3) | instskip(NEXT) | instid1(VALU_DEP_1)
	v_mul_lo_u32 v3, s10, v6
	v_add3_u32 v5, v5, v3, v7
	v_ashrrev_i32_e32 v3, 31, v2
	s_delay_alu instid0(VALU_DEP_2) | instskip(NEXT) | instid1(VALU_DEP_2)
	v_lshlrev_b64_e32 v[4:5], 4, v[4:5]
	v_lshlrev_b64_e32 v[2:3], 4, v[2:3]
	s_delay_alu instid0(VALU_DEP_2) | instskip(SKIP_1) | instid1(VALU_DEP_3)
	v_add_co_u32 v4, s0, s22, v4
	s_wait_alu 0xf1ff
	v_add_co_ci_u32_e64 v5, null, s23, v5, s0
	s_delay_alu instid0(VALU_DEP_2) | instskip(SKIP_1) | instid1(VALU_DEP_2)
	v_add_co_u32 v2, s0, v4, v2
	s_wait_alu 0xf1ff
	v_add_co_ci_u32_e64 v3, null, v5, v3, s0
	global_load_b128 v[4:7], v[2:3], off
.LBB19_12:                              ;   in Loop: Header=BB19_10 Depth=3
	s_wait_alu 0xfffe
	s_or_b32 exec_lo, exec_lo, s43
	v_dual_mov_b32 v2, 0 :: v_dual_add_nc_u32 v11, s42, v14
	v_mov_b32_e32 v3, 0
	s_wait_loadcnt 0x0
	ds_store_b128 v17, v[4:7]
	v_cmp_gt_i32_e64 s0, s37, v11
	s_and_b32 s0, s0, vcc_lo
	s_wait_alu 0xfffe
	s_and_saveexec_b32 s43, s0
	s_cbranch_execz .LBB19_14
; %bb.13:                               ;   in Loop: Header=BB19_10 Depth=3
	v_ashrrev_i32_e32 v12, 31, v11
	s_delay_alu instid0(VALU_DEP_1) | instskip(NEXT) | instid1(VALU_DEP_1)
	v_lshlrev_b64_e32 v[0:1], 4, v[11:12]
	v_add_co_u32 v0, s0, v23, v0
	s_wait_alu 0xf1ff
	s_delay_alu instid0(VALU_DEP_2)
	v_add_co_ci_u32_e64 v1, null, v24, v1, s0
	global_load_b128 v[0:3], v[0:1], off
.LBB19_14:                              ;   in Loop: Header=BB19_10 Depth=3
	s_wait_alu 0xfffe
	s_or_b32 exec_lo, exec_lo, s43
	s_wait_loadcnt 0x0
	ds_store_b128 v18, v[0:3]
	s_wait_dscnt 0x0
	s_barrier_signal -1
	s_barrier_wait -1
	global_inv scope:SCOPE_SE
	s_and_saveexec_b32 s0, s41
	s_cbranch_execz .LBB19_9
; %bb.15:                               ;   in Loop: Header=BB19_10 Depth=3
	v_mov_b32_e32 v0, 0
	v_dual_mov_b32 v1, 0 :: v_dual_mov_b32 v2, 0
	v_dual_mov_b32 v3, 0 :: v_dual_mov_b32 v4, v16
	s_mov_b32 s43, 0
.LBB19_16:                              ;   Parent Loop BB19_4 Depth=1
                                        ;     Parent Loop BB19_7 Depth=2
                                        ;       Parent Loop BB19_10 Depth=3
                                        ; =>      This Inner Loop Header: Depth=4
	s_wait_alu 0xfffe
	v_add_nc_u32_e32 v7, s43, v15
	s_addk_co_i32 s43, 0x80
	ds_load_b128 v[25:28], v4
	ds_load_b128 v[29:32], v7
	ds_load_b128 v[33:36], v4 offset:512
	ds_load_b128 v[37:40], v7 offset:16
	s_wait_alu 0xfffe
	s_cmp_eq_u32 s43, 0x200
	s_wait_dscnt 0x2
	v_mul_f64_e32 v[5:6], v[27:28], v[31:32]
	v_mul_f64_e32 v[11:12], v[25:26], v[31:32]
	s_wait_dscnt 0x0
	v_mul_f64_e32 v[47:48], v[35:36], v[39:40]
	v_mul_f64_e32 v[49:50], v[33:34], v[39:40]
	s_delay_alu instid0(VALU_DEP_4) | instskip(NEXT) | instid1(VALU_DEP_4)
	v_fma_f64 v[5:6], v[25:26], v[29:30], -v[5:6]
	v_fma_f64 v[11:12], v[27:28], v[29:30], v[11:12]
	ds_load_b128 v[25:28], v4 offset:1024
	ds_load_b128 v[29:32], v7 offset:32
	;; [unrolled: 1-line block ×4, first 2 shown]
	v_fma_f64 v[33:34], v[33:34], v[37:38], -v[47:48]
	v_fma_f64 v[35:36], v[35:36], v[37:38], v[49:50]
	s_wait_dscnt 0x2
	v_mul_f64_e32 v[51:52], v[27:28], v[31:32]
	v_mul_f64_e32 v[31:32], v[25:26], v[31:32]
	v_add_f64_e32 v[0:1], v[0:1], v[5:6]
	v_add_f64_e32 v[2:3], v[2:3], v[11:12]
	s_wait_dscnt 0x0
	v_mul_f64_e32 v[5:6], v[41:42], v[45:46]
	v_mul_f64_e32 v[11:12], v[39:40], v[45:46]
	v_fma_f64 v[37:38], v[25:26], v[29:30], -v[51:52]
	v_fma_f64 v[45:46], v[27:28], v[29:30], v[31:32]
	v_add_f64_e32 v[47:48], v[0:1], v[33:34]
	v_add_f64_e32 v[49:50], v[2:3], v[35:36]
	ds_load_b128 v[0:3], v4 offset:2048
	ds_load_b128 v[25:28], v7 offset:64
	;; [unrolled: 1-line block ×4, first 2 shown]
	v_fma_f64 v[5:6], v[39:40], v[43:44], -v[5:6]
	v_fma_f64 v[11:12], v[41:42], v[43:44], v[11:12]
	s_wait_dscnt 0x2
	v_mul_f64_e32 v[51:52], v[2:3], v[27:28]
	v_mul_f64_e32 v[27:28], v[0:1], v[27:28]
	s_wait_dscnt 0x0
	v_mul_f64_e32 v[43:44], v[31:32], v[35:36]
	v_add_f64_e32 v[37:38], v[47:48], v[37:38]
	v_add_f64_e32 v[39:40], v[49:50], v[45:46]
	v_mul_f64_e32 v[45:46], v[29:30], v[35:36]
	v_fma_f64 v[47:48], v[0:1], v[25:26], -v[51:52]
	v_fma_f64 v[49:50], v[2:3], v[25:26], v[27:28]
	v_fma_f64 v[29:30], v[29:30], v[33:34], -v[43:44]
	v_add_f64_e32 v[5:6], v[37:38], v[5:6]
	v_add_f64_e32 v[11:12], v[39:40], v[11:12]
	ds_load_b128 v[0:3], v4 offset:3072
	ds_load_b128 v[25:28], v7 offset:96
	;; [unrolled: 1-line block ×4, first 2 shown]
	v_fma_f64 v[31:32], v[31:32], v[33:34], v[45:46]
	v_add_nc_u32_e32 v4, 0x1000, v4
	s_wait_dscnt 0x2
	v_mul_f64_e32 v[51:52], v[2:3], v[27:28]
	v_mul_f64_e32 v[27:28], v[0:1], v[27:28]
	s_wait_dscnt 0x0
	v_mul_f64_e32 v[33:34], v[37:38], v[41:42]
	v_mul_f64_e32 v[41:42], v[35:36], v[41:42]
	v_add_f64_e32 v[5:6], v[5:6], v[47:48]
	v_add_f64_e32 v[11:12], v[11:12], v[49:50]
	v_fma_f64 v[0:1], v[0:1], v[25:26], -v[51:52]
	v_fma_f64 v[2:3], v[2:3], v[25:26], v[27:28]
	v_fma_f64 v[25:26], v[35:36], v[39:40], -v[33:34]
	v_fma_f64 v[27:28], v[37:38], v[39:40], v[41:42]
	v_add_f64_e32 v[5:6], v[5:6], v[29:30]
	v_add_f64_e32 v[11:12], v[11:12], v[31:32]
	s_delay_alu instid0(VALU_DEP_2) | instskip(NEXT) | instid1(VALU_DEP_2)
	v_add_f64_e32 v[0:1], v[5:6], v[0:1]
	v_add_f64_e32 v[2:3], v[11:12], v[2:3]
	s_delay_alu instid0(VALU_DEP_2) | instskip(NEXT) | instid1(VALU_DEP_2)
	v_add_f64_e32 v[0:1], v[0:1], v[25:26]
	v_add_f64_e32 v[2:3], v[2:3], v[27:28]
	s_cbranch_scc0 .LBB19_16
; %bb.17:                               ;   in Loop: Header=BB19_10 Depth=3
	global_load_b128 v[4:7], v[9:10], off
	v_mul_f64_e32 v[11:12], s[30:31], v[2:3]
	v_mul_f64_e32 v[25:26], s[30:31], v[0:1]
	s_delay_alu instid0(VALU_DEP_2) | instskip(NEXT) | instid1(VALU_DEP_2)
	v_fma_f64 v[0:1], s[28:29], v[0:1], -v[11:12]
	v_fma_f64 v[2:3], s[28:29], v[2:3], v[25:26]
	s_wait_loadcnt 0x0
	s_delay_alu instid0(VALU_DEP_2) | instskip(NEXT) | instid1(VALU_DEP_2)
	v_add_f64_e32 v[0:1], v[0:1], v[4:5]
	v_add_f64_e32 v[2:3], v[2:3], v[6:7]
	global_store_b128 v[9:10], v[0:3], off
	s_branch .LBB19_9
.LBB19_18:
	s_endpgm
	.section	.rodata,"a",@progbits
	.p2align	6, 0x0
	.amdhsa_kernel _ZL24rocblas_symm_hemm_kernelILb0ELb0ELi32EPK19rocblas_complex_numIdES3_PS1_EvbiiT2_T3_lllS6_lllT4_llli
		.amdhsa_group_segment_fixed_size 32768
		.amdhsa_private_segment_fixed_size 0
		.amdhsa_kernarg_size 384
		.amdhsa_user_sgpr_count 2
		.amdhsa_user_sgpr_dispatch_ptr 0
		.amdhsa_user_sgpr_queue_ptr 0
		.amdhsa_user_sgpr_kernarg_segment_ptr 1
		.amdhsa_user_sgpr_dispatch_id 0
		.amdhsa_user_sgpr_private_segment_size 0
		.amdhsa_wavefront_size32 1
		.amdhsa_uses_dynamic_stack 0
		.amdhsa_enable_private_segment 0
		.amdhsa_system_sgpr_workgroup_id_x 1
		.amdhsa_system_sgpr_workgroup_id_y 1
		.amdhsa_system_sgpr_workgroup_id_z 1
		.amdhsa_system_sgpr_workgroup_info 0
		.amdhsa_system_vgpr_workitem_id 1
		.amdhsa_next_free_vgpr 53
		.amdhsa_next_free_sgpr 44
		.amdhsa_reserve_vcc 1
		.amdhsa_float_round_mode_32 0
		.amdhsa_float_round_mode_16_64 0
		.amdhsa_float_denorm_mode_32 3
		.amdhsa_float_denorm_mode_16_64 3
		.amdhsa_fp16_overflow 0
		.amdhsa_workgroup_processor_mode 1
		.amdhsa_memory_ordered 1
		.amdhsa_forward_progress 1
		.amdhsa_inst_pref_size 13
		.amdhsa_round_robin_scheduling 0
		.amdhsa_exception_fp_ieee_invalid_op 0
		.amdhsa_exception_fp_denorm_src 0
		.amdhsa_exception_fp_ieee_div_zero 0
		.amdhsa_exception_fp_ieee_overflow 0
		.amdhsa_exception_fp_ieee_underflow 0
		.amdhsa_exception_fp_ieee_inexact 0
		.amdhsa_exception_int_div_zero 0
	.end_amdhsa_kernel
	.section	.text._ZL24rocblas_symm_hemm_kernelILb0ELb0ELi32EPK19rocblas_complex_numIdES3_PS1_EvbiiT2_T3_lllS6_lllT4_llli,"axG",@progbits,_ZL24rocblas_symm_hemm_kernelILb0ELb0ELi32EPK19rocblas_complex_numIdES3_PS1_EvbiiT2_T3_lllS6_lllT4_llli,comdat
.Lfunc_end19:
	.size	_ZL24rocblas_symm_hemm_kernelILb0ELb0ELi32EPK19rocblas_complex_numIdES3_PS1_EvbiiT2_T3_lllS6_lllT4_llli, .Lfunc_end19-_ZL24rocblas_symm_hemm_kernelILb0ELb0ELi32EPK19rocblas_complex_numIdES3_PS1_EvbiiT2_T3_lllS6_lllT4_llli
                                        ; -- End function
	.set _ZL24rocblas_symm_hemm_kernelILb0ELb0ELi32EPK19rocblas_complex_numIdES3_PS1_EvbiiT2_T3_lllS6_lllT4_llli.num_vgpr, 53
	.set _ZL24rocblas_symm_hemm_kernelILb0ELb0ELi32EPK19rocblas_complex_numIdES3_PS1_EvbiiT2_T3_lllS6_lllT4_llli.num_agpr, 0
	.set _ZL24rocblas_symm_hemm_kernelILb0ELb0ELi32EPK19rocblas_complex_numIdES3_PS1_EvbiiT2_T3_lllS6_lllT4_llli.numbered_sgpr, 44
	.set _ZL24rocblas_symm_hemm_kernelILb0ELb0ELi32EPK19rocblas_complex_numIdES3_PS1_EvbiiT2_T3_lllS6_lllT4_llli.num_named_barrier, 0
	.set _ZL24rocblas_symm_hemm_kernelILb0ELb0ELi32EPK19rocblas_complex_numIdES3_PS1_EvbiiT2_T3_lllS6_lllT4_llli.private_seg_size, 0
	.set _ZL24rocblas_symm_hemm_kernelILb0ELb0ELi32EPK19rocblas_complex_numIdES3_PS1_EvbiiT2_T3_lllS6_lllT4_llli.uses_vcc, 1
	.set _ZL24rocblas_symm_hemm_kernelILb0ELb0ELi32EPK19rocblas_complex_numIdES3_PS1_EvbiiT2_T3_lllS6_lllT4_llli.uses_flat_scratch, 0
	.set _ZL24rocblas_symm_hemm_kernelILb0ELb0ELi32EPK19rocblas_complex_numIdES3_PS1_EvbiiT2_T3_lllS6_lllT4_llli.has_dyn_sized_stack, 0
	.set _ZL24rocblas_symm_hemm_kernelILb0ELb0ELi32EPK19rocblas_complex_numIdES3_PS1_EvbiiT2_T3_lllS6_lllT4_llli.has_recursion, 0
	.set _ZL24rocblas_symm_hemm_kernelILb0ELb0ELi32EPK19rocblas_complex_numIdES3_PS1_EvbiiT2_T3_lllS6_lllT4_llli.has_indirect_call, 0
	.section	.AMDGPU.csdata,"",@progbits
; Kernel info:
; codeLenInByte = 1588
; TotalNumSgprs: 46
; NumVgprs: 53
; ScratchSize: 0
; MemoryBound: 1
; FloatMode: 240
; IeeeMode: 1
; LDSByteSize: 32768 bytes/workgroup (compile time only)
; SGPRBlocks: 0
; VGPRBlocks: 6
; NumSGPRsForWavesPerEU: 46
; NumVGPRsForWavesPerEU: 53
; Occupancy: 16
; WaveLimiterHint : 1
; COMPUTE_PGM_RSRC2:SCRATCH_EN: 0
; COMPUTE_PGM_RSRC2:USER_SGPR: 2
; COMPUTE_PGM_RSRC2:TRAP_HANDLER: 0
; COMPUTE_PGM_RSRC2:TGID_X_EN: 1
; COMPUTE_PGM_RSRC2:TGID_Y_EN: 1
; COMPUTE_PGM_RSRC2:TGID_Z_EN: 1
; COMPUTE_PGM_RSRC2:TIDIG_COMP_CNT: 1
	.section	.text._ZL24rocblas_symm_hemm_kernelILb0ELb1ELi32EPK19rocblas_complex_numIdES3_PS1_EvbiiT2_T3_lllS6_lllT4_llli,"axG",@progbits,_ZL24rocblas_symm_hemm_kernelILb0ELb1ELi32EPK19rocblas_complex_numIdES3_PS1_EvbiiT2_T3_lllS6_lllT4_llli,comdat
	.globl	_ZL24rocblas_symm_hemm_kernelILb0ELb1ELi32EPK19rocblas_complex_numIdES3_PS1_EvbiiT2_T3_lllS6_lllT4_llli ; -- Begin function _ZL24rocblas_symm_hemm_kernelILb0ELb1ELi32EPK19rocblas_complex_numIdES3_PS1_EvbiiT2_T3_lllS6_lllT4_llli
	.p2align	8
	.type	_ZL24rocblas_symm_hemm_kernelILb0ELb1ELi32EPK19rocblas_complex_numIdES3_PS1_EvbiiT2_T3_lllS6_lllT4_llli,@function
_ZL24rocblas_symm_hemm_kernelILb0ELb1ELi32EPK19rocblas_complex_numIdES3_PS1_EvbiiT2_T3_lllS6_lllT4_llli: ; @_ZL24rocblas_symm_hemm_kernelILb0ELb1ELi32EPK19rocblas_complex_numIdES3_PS1_EvbiiT2_T3_lllS6_lllT4_llli
; %bb.0:
	s_load_b512 s[4:19], s[0:1], 0x10
	s_wait_kmcnt 0x0
	s_load_b128 s[28:31], s[4:5], 0x0
	s_wait_kmcnt 0x0
	v_cmp_eq_f64_e64 s2, s[28:29], 0
	v_cmp_eq_f64_e64 s3, s[30:31], 0
	s_and_b32 s2, s2, s3
	s_delay_alu instid0(SALU_CYCLE_1)
	s_and_b32 vcc_lo, exec_lo, s2
	s_cbranch_vccnz .LBB20_18
; %bb.1:
	s_load_b32 s33, s[0:1], 0x78
	s_lshr_b32 s4, ttmp7, 16
	s_wait_kmcnt 0x0
	s_cmp_ge_u32 s4, s33
	s_cbranch_scc1 .LBB20_18
; %bb.2:
	s_clause 0x1
	s_load_b96 s[36:38], s[0:1], 0x0
	s_load_b256 s[20:27], s[0:1], 0x50
	v_and_b32_e32 v12, 0x3ff, v0
	v_bfe_u32 v13, v0, 10, 10
	s_lshl_b64 s[34:35], s[8:9], 4
	s_load_b64 s[8:9], s[0:1], 0x70
	s_add_nc_u64 s[6:7], s[6:7], s[34:35]
	v_lshl_add_u32 v0, ttmp9, 5, v12
	v_lshlrev_b32_e32 v2, 4, v13
	v_lshlrev_b32_e32 v14, 9, v12
	s_delay_alu instid0(VALU_DEP_3) | instskip(NEXT) | instid1(VALU_DEP_3)
	v_ashrrev_i32_e32 v1, 31, v0
	v_or_b32_e32 v15, 0x4000, v2
	s_delay_alu instid0(VALU_DEP_3) | instskip(NEXT) | instid1(VALU_DEP_3)
	v_add_nc_u32_e32 v16, v14, v2
	v_lshlrev_b64_e32 v[1:2], 4, v[0:1]
	s_delay_alu instid0(VALU_DEP_3)
	v_add_nc_u32_e32 v17, v15, v14
	s_wait_kmcnt 0x0
	s_bitcmp1_b32 s36, 0
	v_cmp_gt_i32_e64 s2, s37, v0
	s_cselect_b32 s3, -1, 0
	s_add_co_i32 s5, s38, -1
	s_lshl_b64 s[16:17], s[16:17], 4
	s_ashr_i32 s39, s5, 31
	s_lshl_b64 s[36:37], s[24:25], 4
	s_lshr_b32 s25, s39, 27
	s_add_nc_u64 s[14:15], s[14:15], s[16:17]
	s_add_co_i32 s5, s5, s25
	s_wait_alu 0xfffe
	s_add_nc_u64 s[16:17], s[22:23], s[36:37]
	v_add_co_u32 v18, vcc_lo, s14, v1
	s_and_b32 s24, ttmp7, 0xffff
	s_ashr_i32 s25, s5, 5
	v_add_co_ci_u32_e64 v19, null, s15, v2, vcc_lo
	v_add_co_u32 v20, vcc_lo, s16, v1
	s_cmp_le_i32 s24, s25
	s_wait_alu 0xfffd
	v_add_co_ci_u32_e64 v21, null, s17, v2, vcc_lo
	s_cselect_b32 s22, -1, 0
	s_cmp_gt_i32 s38, 0
	s_mov_b32 s5, 0
	s_cselect_b32 s23, -1, 0
	s_add_nc_u64 s[14:15], s[0:1], 0x80
	s_branch .LBB20_4
.LBB20_3:                               ;   in Loop: Header=BB20_4 Depth=1
	s_add_co_i32 s4, s4, 0x10000
	s_delay_alu instid0(SALU_CYCLE_1)
	s_cmp_lt_u32 s4, s33
	s_cbranch_scc0 .LBB20_18
.LBB20_4:                               ; =>This Loop Header: Depth=1
                                        ;     Child Loop BB20_7 Depth 2
                                        ;       Child Loop BB20_10 Depth 3
                                        ;         Child Loop BB20_16 Depth 4
	s_and_not1_b32 vcc_lo, exec_lo, s22
	s_wait_alu 0xfffe
	s_cbranch_vccnz .LBB20_3
; %bb.5:                                ;   in Loop: Header=BB20_4 Depth=1
	s_load_b32 s1, s[14:15], 0x4
	s_mul_u64 s[34:35], s[20:21], s[4:5]
	s_mul_u64 s[36:37], s[8:9], s[4:5]
	s_wait_alu 0xfffe
	s_lshl_b64 s[34:35], s[34:35], 4
	s_mul_u64 s[16:17], s[12:13], s[4:5]
	s_wait_alu 0xfffe
	v_add_co_u32 v22, vcc_lo, v18, s34
	s_wait_alu 0xfffd
	v_add_co_ci_u32_e64 v23, null, s35, v19, vcc_lo
	s_lshl_b64 s[34:35], s[36:37], 4
	s_lshl_b64 s[16:17], s[16:17], 4
	s_wait_alu 0xfffe
	v_add_co_u32 v24, vcc_lo, v20, s34
	s_wait_alu 0xfffd
	v_add_co_ci_u32_e64 v25, null, s35, v21, vcc_lo
	s_add_nc_u64 s[16:17], s[6:7], s[16:17]
	s_mov_b32 s34, s24
	s_branch .LBB20_7
.LBB20_6:                               ;   in Loop: Header=BB20_7 Depth=2
	s_wait_kmcnt 0x0
	s_add_co_i32 s34, s34, s1
	s_wait_alu 0xfffe
	s_cmp_gt_i32 s34, s25
	s_cbranch_scc1 .LBB20_3
.LBB20_7:                               ;   Parent Loop BB20_4 Depth=1
                                        ; =>  This Loop Header: Depth=2
                                        ;       Child Loop BB20_10 Depth 3
                                        ;         Child Loop BB20_16 Depth 4
	s_and_not1_b32 vcc_lo, exec_lo, s23
	s_wait_alu 0xfffe
	s_cbranch_vccnz .LBB20_6
; %bb.8:                                ;   in Loop: Header=BB20_7 Depth=2
	v_lshl_add_u32 v26, s34, 5, v13
	s_mov_b32 s35, 0
	s_delay_alu instid0(VALU_DEP_1) | instskip(SKIP_3) | instid1(VALU_DEP_4)
	v_ashrrev_i32_e32 v2, 31, v26
	v_mul_lo_u32 v3, s27, v26
	v_mad_co_u64_u32 v[0:1], null, s26, v26, 0
	v_cmp_gt_i32_e32 vcc_lo, s38, v26
	v_mul_lo_u32 v2, s26, v2
	s_delay_alu instid0(VALU_DEP_1) | instskip(NEXT) | instid1(VALU_DEP_1)
	v_add3_u32 v1, v1, v2, v3
	v_lshlrev_b64_e32 v[0:1], 4, v[0:1]
	s_delay_alu instid0(VALU_DEP_1) | instskip(SKIP_1) | instid1(VALU_DEP_2)
	v_add_co_u32 v8, s0, v24, v0
	s_wait_alu 0xf1ff
	v_add_co_ci_u32_e64 v9, null, v25, v1, s0
	s_and_b32 s0, s2, vcc_lo
	s_branch .LBB20_10
.LBB20_9:                               ;   in Loop: Header=BB20_10 Depth=3
	s_wait_alu 0xfffe
	s_or_b32 exec_lo, exec_lo, s36
	s_add_co_i32 s35, s35, 32
	s_wait_loadcnt 0x0
	s_wait_storecnt 0x0
	s_wait_alu 0xfffe
	s_cmp_ge_i32 s35, s38
	s_barrier_signal -1
	s_barrier_wait -1
	global_inv scope:SCOPE_SE
	s_cbranch_scc1 .LBB20_6
.LBB20_10:                              ;   Parent Loop BB20_4 Depth=1
                                        ;     Parent Loop BB20_7 Depth=2
                                        ; =>    This Loop Header: Depth=3
                                        ;         Child Loop BB20_16 Depth 4
	s_wait_alu 0xfffe
	v_add_nc_u32_e32 v2, s35, v13
	v_mov_b32_e32 v0, 0
	v_dual_mov_b32 v1, 0 :: v_dual_mov_b32 v4, 0
	v_mov_b32_e32 v6, 0
	s_delay_alu instid0(VALU_DEP_4)
	v_cmp_gt_i32_e32 vcc_lo, s38, v2
	v_mov_b32_e32 v5, 0
	v_mov_b32_e32 v7, 0
	s_and_b32 s37, s2, vcc_lo
	s_wait_alu 0xfffe
	s_and_saveexec_b32 s36, s37
	s_cbranch_execz .LBB20_12
; %bb.11:                               ;   in Loop: Header=BB20_10 Depth=3
	v_ashrrev_i32_e32 v4, 31, v2
	v_mul_lo_u32 v5, s19, v2
	v_mad_co_u64_u32 v[2:3], null, s18, v2, 0
	s_delay_alu instid0(VALU_DEP_3) | instskip(NEXT) | instid1(VALU_DEP_1)
	v_mul_lo_u32 v4, s18, v4
	v_add3_u32 v3, v3, v4, v5
	s_delay_alu instid0(VALU_DEP_1) | instskip(NEXT) | instid1(VALU_DEP_1)
	v_lshlrev_b64_e32 v[2:3], 4, v[2:3]
	v_add_co_u32 v2, vcc_lo, v22, v2
	s_wait_alu 0xfffd
	s_delay_alu instid0(VALU_DEP_2)
	v_add_co_ci_u32_e64 v3, null, v23, v3, vcc_lo
	global_load_b128 v[4:7], v[2:3], off
.LBB20_12:                              ;   in Loop: Header=BB20_10 Depth=3
	s_wait_alu 0xfffe
	s_or_b32 exec_lo, exec_lo, s36
	v_add_nc_u32_e32 v2, s35, v12
	s_mov_b32 s36, exec_lo
	s_wait_loadcnt 0x0
	ds_store_b128 v16, v[4:7]
	v_cndmask_b32_e64 v3, v26, v2, s3
	v_cndmask_b32_e64 v10, v2, v26, s3
	s_delay_alu instid0(VALU_DEP_1) | instskip(SKIP_4) | instid1(VALU_DEP_2)
	v_cmp_gt_i32_e32 vcc_lo, v3, v10
	s_wait_alu 0xfffd
	v_cndmask_b32_e32 v10, v2, v26, vcc_lo
	v_dual_cndmask_b32 v11, v26, v2 :: v_dual_mov_b32 v2, 0
	v_mov_b32_e32 v3, 0
	v_max_i32_e32 v27, v10, v11
	s_delay_alu instid0(VALU_DEP_1)
	v_cmpx_gt_i32_e64 s38, v27
	s_cbranch_execz .LBB20_14
; %bb.13:                               ;   in Loop: Header=BB20_10 Depth=3
	v_ashrrev_i32_e32 v2, 31, v11
	v_mul_lo_u32 v3, s11, v11
	v_mad_co_u64_u32 v[0:1], null, s10, v11, 0
	v_ashrrev_i32_e32 v11, 31, v10
	s_delay_alu instid0(VALU_DEP_4) | instskip(NEXT) | instid1(VALU_DEP_1)
	v_mul_lo_u32 v2, s10, v2
	v_add3_u32 v1, v1, v2, v3
	s_delay_alu instid0(VALU_DEP_3) | instskip(NEXT) | instid1(VALU_DEP_2)
	v_lshlrev_b64_e32 v[2:3], 4, v[10:11]
	v_lshlrev_b64_e32 v[0:1], 4, v[0:1]
	s_delay_alu instid0(VALU_DEP_1) | instskip(SKIP_1) | instid1(VALU_DEP_2)
	v_add_co_u32 v0, vcc_lo, s16, v0
	s_wait_alu 0xfffd
	v_add_co_ci_u32_e64 v1, null, s17, v1, vcc_lo
	s_delay_alu instid0(VALU_DEP_2) | instskip(SKIP_1) | instid1(VALU_DEP_2)
	v_add_co_u32 v0, vcc_lo, v0, v2
	s_wait_alu 0xfffd
	v_add_co_ci_u32_e64 v1, null, v1, v3, vcc_lo
	global_load_b128 v[0:3], v[0:1], off
.LBB20_14:                              ;   in Loop: Header=BB20_10 Depth=3
	s_wait_alu 0xfffe
	s_or_b32 exec_lo, exec_lo, s36
	s_wait_loadcnt 0x0
	ds_store_b128 v17, v[0:3]
	s_wait_dscnt 0x0
	s_barrier_signal -1
	s_barrier_wait -1
	global_inv scope:SCOPE_SE
	s_and_saveexec_b32 s36, s0
	s_cbranch_execz .LBB20_9
; %bb.15:                               ;   in Loop: Header=BB20_10 Depth=3
	v_mov_b32_e32 v0, 0
	v_dual_mov_b32 v1, 0 :: v_dual_mov_b32 v2, 0
	v_dual_mov_b32 v3, 0 :: v_dual_mov_b32 v4, v15
	s_mov_b32 s37, 0
.LBB20_16:                              ;   Parent Loop BB20_4 Depth=1
                                        ;     Parent Loop BB20_7 Depth=2
                                        ;       Parent Loop BB20_10 Depth=3
                                        ; =>      This Inner Loop Header: Depth=4
	s_wait_alu 0xfffe
	v_add_nc_u32_e32 v7, s37, v14
	s_addk_co_i32 s37, 0x80
	ds_load_b128 v[27:30], v4
	ds_load_b128 v[31:34], v7
	ds_load_b128 v[35:38], v4 offset:512
	ds_load_b128 v[39:42], v7 offset:16
	s_wait_alu 0xfffe
	s_cmp_eq_u32 s37, 0x200
	s_wait_dscnt 0x2
	v_mul_f64_e32 v[5:6], v[29:30], v[33:34]
	v_mul_f64_e32 v[10:11], v[27:28], v[33:34]
	s_wait_dscnt 0x0
	v_mul_f64_e32 v[49:50], v[37:38], v[41:42]
	v_mul_f64_e32 v[51:52], v[35:36], v[41:42]
	s_delay_alu instid0(VALU_DEP_4) | instskip(NEXT) | instid1(VALU_DEP_4)
	v_fma_f64 v[5:6], v[27:28], v[31:32], -v[5:6]
	v_fma_f64 v[10:11], v[29:30], v[31:32], v[10:11]
	ds_load_b128 v[27:30], v4 offset:1024
	ds_load_b128 v[31:34], v7 offset:32
	;; [unrolled: 1-line block ×4, first 2 shown]
	v_fma_f64 v[35:36], v[35:36], v[39:40], -v[49:50]
	v_fma_f64 v[37:38], v[37:38], v[39:40], v[51:52]
	s_wait_dscnt 0x2
	v_mul_f64_e32 v[53:54], v[29:30], v[33:34]
	v_mul_f64_e32 v[33:34], v[27:28], v[33:34]
	v_add_f64_e32 v[0:1], v[0:1], v[5:6]
	v_add_f64_e32 v[2:3], v[2:3], v[10:11]
	s_wait_dscnt 0x0
	v_mul_f64_e32 v[5:6], v[43:44], v[47:48]
	v_mul_f64_e32 v[10:11], v[41:42], v[47:48]
	v_fma_f64 v[39:40], v[27:28], v[31:32], -v[53:54]
	v_fma_f64 v[47:48], v[29:30], v[31:32], v[33:34]
	v_add_f64_e32 v[49:50], v[0:1], v[35:36]
	v_add_f64_e32 v[51:52], v[2:3], v[37:38]
	ds_load_b128 v[0:3], v4 offset:2048
	ds_load_b128 v[27:30], v7 offset:64
	;; [unrolled: 1-line block ×4, first 2 shown]
	v_fma_f64 v[5:6], v[41:42], v[45:46], -v[5:6]
	v_fma_f64 v[10:11], v[43:44], v[45:46], v[10:11]
	s_wait_dscnt 0x2
	v_mul_f64_e32 v[53:54], v[2:3], v[29:30]
	v_mul_f64_e32 v[29:30], v[0:1], v[29:30]
	s_wait_dscnt 0x0
	v_mul_f64_e32 v[45:46], v[33:34], v[37:38]
	v_add_f64_e32 v[39:40], v[49:50], v[39:40]
	v_add_f64_e32 v[41:42], v[51:52], v[47:48]
	v_mul_f64_e32 v[47:48], v[31:32], v[37:38]
	v_fma_f64 v[49:50], v[0:1], v[27:28], -v[53:54]
	v_fma_f64 v[51:52], v[2:3], v[27:28], v[29:30]
	v_fma_f64 v[31:32], v[31:32], v[35:36], -v[45:46]
	v_add_f64_e32 v[5:6], v[39:40], v[5:6]
	v_add_f64_e32 v[10:11], v[41:42], v[10:11]
	ds_load_b128 v[0:3], v4 offset:3072
	ds_load_b128 v[27:30], v7 offset:96
	ds_load_b128 v[37:40], v4 offset:3584
	ds_load_b128 v[41:44], v7 offset:112
	v_fma_f64 v[33:34], v[33:34], v[35:36], v[47:48]
	v_add_nc_u32_e32 v4, 0x1000, v4
	s_wait_dscnt 0x2
	v_mul_f64_e32 v[53:54], v[2:3], v[29:30]
	v_mul_f64_e32 v[29:30], v[0:1], v[29:30]
	s_wait_dscnt 0x0
	v_mul_f64_e32 v[35:36], v[39:40], v[43:44]
	v_mul_f64_e32 v[43:44], v[37:38], v[43:44]
	v_add_f64_e32 v[5:6], v[5:6], v[49:50]
	v_add_f64_e32 v[10:11], v[10:11], v[51:52]
	v_fma_f64 v[0:1], v[0:1], v[27:28], -v[53:54]
	v_fma_f64 v[2:3], v[2:3], v[27:28], v[29:30]
	v_fma_f64 v[27:28], v[37:38], v[41:42], -v[35:36]
	v_fma_f64 v[29:30], v[39:40], v[41:42], v[43:44]
	v_add_f64_e32 v[5:6], v[5:6], v[31:32]
	v_add_f64_e32 v[10:11], v[10:11], v[33:34]
	s_delay_alu instid0(VALU_DEP_2) | instskip(NEXT) | instid1(VALU_DEP_2)
	v_add_f64_e32 v[0:1], v[5:6], v[0:1]
	v_add_f64_e32 v[2:3], v[10:11], v[2:3]
	s_delay_alu instid0(VALU_DEP_2) | instskip(NEXT) | instid1(VALU_DEP_2)
	v_add_f64_e32 v[0:1], v[0:1], v[27:28]
	v_add_f64_e32 v[2:3], v[2:3], v[29:30]
	s_cbranch_scc0 .LBB20_16
; %bb.17:                               ;   in Loop: Header=BB20_10 Depth=3
	global_load_b128 v[4:7], v[8:9], off
	v_mul_f64_e32 v[10:11], s[30:31], v[2:3]
	v_mul_f64_e32 v[27:28], s[30:31], v[0:1]
	s_delay_alu instid0(VALU_DEP_2) | instskip(NEXT) | instid1(VALU_DEP_2)
	v_fma_f64 v[0:1], s[28:29], v[0:1], -v[10:11]
	v_fma_f64 v[2:3], s[28:29], v[2:3], v[27:28]
	s_wait_loadcnt 0x0
	s_delay_alu instid0(VALU_DEP_2) | instskip(NEXT) | instid1(VALU_DEP_2)
	v_add_f64_e32 v[0:1], v[0:1], v[4:5]
	v_add_f64_e32 v[2:3], v[2:3], v[6:7]
	global_store_b128 v[8:9], v[0:3], off
	s_branch .LBB20_9
.LBB20_18:
	s_endpgm
	.section	.rodata,"a",@progbits
	.p2align	6, 0x0
	.amdhsa_kernel _ZL24rocblas_symm_hemm_kernelILb0ELb1ELi32EPK19rocblas_complex_numIdES3_PS1_EvbiiT2_T3_lllS6_lllT4_llli
		.amdhsa_group_segment_fixed_size 32768
		.amdhsa_private_segment_fixed_size 0
		.amdhsa_kernarg_size 384
		.amdhsa_user_sgpr_count 2
		.amdhsa_user_sgpr_dispatch_ptr 0
		.amdhsa_user_sgpr_queue_ptr 0
		.amdhsa_user_sgpr_kernarg_segment_ptr 1
		.amdhsa_user_sgpr_dispatch_id 0
		.amdhsa_user_sgpr_private_segment_size 0
		.amdhsa_wavefront_size32 1
		.amdhsa_uses_dynamic_stack 0
		.amdhsa_enable_private_segment 0
		.amdhsa_system_sgpr_workgroup_id_x 1
		.amdhsa_system_sgpr_workgroup_id_y 1
		.amdhsa_system_sgpr_workgroup_id_z 1
		.amdhsa_system_sgpr_workgroup_info 0
		.amdhsa_system_vgpr_workitem_id 1
		.amdhsa_next_free_vgpr 55
		.amdhsa_next_free_sgpr 40
		.amdhsa_reserve_vcc 1
		.amdhsa_float_round_mode_32 0
		.amdhsa_float_round_mode_16_64 0
		.amdhsa_float_denorm_mode_32 3
		.amdhsa_float_denorm_mode_16_64 3
		.amdhsa_fp16_overflow 0
		.amdhsa_workgroup_processor_mode 1
		.amdhsa_memory_ordered 1
		.amdhsa_forward_progress 1
		.amdhsa_inst_pref_size 13
		.amdhsa_round_robin_scheduling 0
		.amdhsa_exception_fp_ieee_invalid_op 0
		.amdhsa_exception_fp_denorm_src 0
		.amdhsa_exception_fp_ieee_div_zero 0
		.amdhsa_exception_fp_ieee_overflow 0
		.amdhsa_exception_fp_ieee_underflow 0
		.amdhsa_exception_fp_ieee_inexact 0
		.amdhsa_exception_int_div_zero 0
	.end_amdhsa_kernel
	.section	.text._ZL24rocblas_symm_hemm_kernelILb0ELb1ELi32EPK19rocblas_complex_numIdES3_PS1_EvbiiT2_T3_lllS6_lllT4_llli,"axG",@progbits,_ZL24rocblas_symm_hemm_kernelILb0ELb1ELi32EPK19rocblas_complex_numIdES3_PS1_EvbiiT2_T3_lllS6_lllT4_llli,comdat
.Lfunc_end20:
	.size	_ZL24rocblas_symm_hemm_kernelILb0ELb1ELi32EPK19rocblas_complex_numIdES3_PS1_EvbiiT2_T3_lllS6_lllT4_llli, .Lfunc_end20-_ZL24rocblas_symm_hemm_kernelILb0ELb1ELi32EPK19rocblas_complex_numIdES3_PS1_EvbiiT2_T3_lllS6_lllT4_llli
                                        ; -- End function
	.set _ZL24rocblas_symm_hemm_kernelILb0ELb1ELi32EPK19rocblas_complex_numIdES3_PS1_EvbiiT2_T3_lllS6_lllT4_llli.num_vgpr, 55
	.set _ZL24rocblas_symm_hemm_kernelILb0ELb1ELi32EPK19rocblas_complex_numIdES3_PS1_EvbiiT2_T3_lllS6_lllT4_llli.num_agpr, 0
	.set _ZL24rocblas_symm_hemm_kernelILb0ELb1ELi32EPK19rocblas_complex_numIdES3_PS1_EvbiiT2_T3_lllS6_lllT4_llli.numbered_sgpr, 40
	.set _ZL24rocblas_symm_hemm_kernelILb0ELb1ELi32EPK19rocblas_complex_numIdES3_PS1_EvbiiT2_T3_lllS6_lllT4_llli.num_named_barrier, 0
	.set _ZL24rocblas_symm_hemm_kernelILb0ELb1ELi32EPK19rocblas_complex_numIdES3_PS1_EvbiiT2_T3_lllS6_lllT4_llli.private_seg_size, 0
	.set _ZL24rocblas_symm_hemm_kernelILb0ELb1ELi32EPK19rocblas_complex_numIdES3_PS1_EvbiiT2_T3_lllS6_lllT4_llli.uses_vcc, 1
	.set _ZL24rocblas_symm_hemm_kernelILb0ELb1ELi32EPK19rocblas_complex_numIdES3_PS1_EvbiiT2_T3_lllS6_lllT4_llli.uses_flat_scratch, 0
	.set _ZL24rocblas_symm_hemm_kernelILb0ELb1ELi32EPK19rocblas_complex_numIdES3_PS1_EvbiiT2_T3_lllS6_lllT4_llli.has_dyn_sized_stack, 0
	.set _ZL24rocblas_symm_hemm_kernelILb0ELb1ELi32EPK19rocblas_complex_numIdES3_PS1_EvbiiT2_T3_lllS6_lllT4_llli.has_recursion, 0
	.set _ZL24rocblas_symm_hemm_kernelILb0ELb1ELi32EPK19rocblas_complex_numIdES3_PS1_EvbiiT2_T3_lllS6_lllT4_llli.has_indirect_call, 0
	.section	.AMDGPU.csdata,"",@progbits
; Kernel info:
; codeLenInByte = 1592
; TotalNumSgprs: 42
; NumVgprs: 55
; ScratchSize: 0
; MemoryBound: 1
; FloatMode: 240
; IeeeMode: 1
; LDSByteSize: 32768 bytes/workgroup (compile time only)
; SGPRBlocks: 0
; VGPRBlocks: 6
; NumSGPRsForWavesPerEU: 42
; NumVGPRsForWavesPerEU: 55
; Occupancy: 16
; WaveLimiterHint : 1
; COMPUTE_PGM_RSRC2:SCRATCH_EN: 0
; COMPUTE_PGM_RSRC2:USER_SGPR: 2
; COMPUTE_PGM_RSRC2:TRAP_HANDLER: 0
; COMPUTE_PGM_RSRC2:TGID_X_EN: 1
; COMPUTE_PGM_RSRC2:TGID_Y_EN: 1
; COMPUTE_PGM_RSRC2:TGID_Z_EN: 1
; COMPUTE_PGM_RSRC2:TIDIG_COMP_CNT: 1
	.section	.text._ZL25rocblas_symm_scale_kernelILi128ELi8E19rocblas_complex_numIdEPS1_EviiT1_T2_llli,"axG",@progbits,_ZL25rocblas_symm_scale_kernelILi128ELi8E19rocblas_complex_numIdEPS1_EviiT1_T2_llli,comdat
	.globl	_ZL25rocblas_symm_scale_kernelILi128ELi8E19rocblas_complex_numIdEPS1_EviiT1_T2_llli ; -- Begin function _ZL25rocblas_symm_scale_kernelILi128ELi8E19rocblas_complex_numIdEPS1_EviiT1_T2_llli
	.p2align	8
	.type	_ZL25rocblas_symm_scale_kernelILi128ELi8E19rocblas_complex_numIdEPS1_EviiT1_T2_llli,@function
_ZL25rocblas_symm_scale_kernelILi128ELi8E19rocblas_complex_numIdEPS1_EviiT1_T2_llli: ; @_ZL25rocblas_symm_scale_kernelILi128ELi8E19rocblas_complex_numIdEPS1_EviiT1_T2_llli
; %bb.0:
	s_load_b256 s[4:11], s[0:1], 0x8
	s_wait_kmcnt 0x0
	v_cmp_eq_f64_e64 s2, s[4:5], 1.0
	v_cmp_eq_f64_e64 s3, s[6:7], 0
	s_and_b32 s2, s2, s3
	s_delay_alu instid0(SALU_CYCLE_1)
	s_and_b32 vcc_lo, exec_lo, s2
	s_cbranch_vccnz .LBB21_9
; %bb.1:
	s_load_b32 s18, s[0:1], 0x38
	s_lshr_b32 s19, ttmp7, 16
	s_wait_kmcnt 0x0
	s_cmp_ge_u32 s19, s18
	s_cbranch_scc1 .LBB21_9
; %bb.2:
	s_clause 0x1
	s_load_b128 s[12:15], s[0:1], 0x28
	s_load_b64 s[16:17], s[0:1], 0x0
	v_bfe_u32 v1, v0, 10, 10
	s_and_b32 s2, ttmp7, 0xffff
	v_cmp_neq_f64_e64 s20, s[4:5], 0
	v_cmp_neq_f64_e64 s21, s[6:7], 0
	v_dual_mov_b32 v5, 0 :: v_dual_and_b32 v0, 0x3ff, v0
	v_lshl_add_u32 v4, s2, 3, v1
	s_add_nc_u64 s[2:3], s[0:1], 64
	s_lshl_b64 s[0:1], s[10:11], 4
	s_delay_alu instid0(VALU_DEP_2)
	v_lshl_add_u32 v6, ttmp9, 7, v0
	v_mov_b32_e32 v7, v5
	s_wait_kmcnt 0x0
	v_mad_co_u64_u32 v[1:2], null, s12, v4, 0
	s_ashr_i32 s11, s17, 31
	s_mov_b32 s10, s17
	v_mad_co_u64_u32 v[2:3], null, s13, v4, v[2:3]
	s_lshl_b64 s[12:13], s[12:13], 4
	v_lshlrev_b64_e32 v[0:1], 4, v[1:2]
	v_lshlrev_b64_e32 v[2:3], 4, v[6:7]
	s_delay_alu instid0(VALU_DEP_2) | instskip(NEXT) | instid1(VALU_DEP_1)
	v_add_co_u32 v0, vcc_lo, v0, s0
	v_add_co_ci_u32_e64 v1, null, s1, v1, vcc_lo
	v_cmp_gt_i64_e32 vcc_lo, s[10:11], v[4:5]
	s_delay_alu instid0(VALU_DEP_3) | instskip(SKIP_1) | instid1(VALU_DEP_3)
	v_add_co_u32 v0, s0, v0, v2
	s_wait_alu 0xf1ff
	v_add_co_ci_u32_e64 v1, null, v1, v3, s0
	v_cmp_gt_u32_e64 s0, s16, v6
	s_delay_alu instid0(VALU_DEP_3) | instskip(SKIP_1) | instid1(VALU_DEP_3)
	v_add_co_u32 v0, s1, s8, v0
	s_wait_alu 0xf1ff
	v_add_co_ci_u32_e64 v1, null, s9, v1, s1
	s_and_b32 s1, s0, vcc_lo
	v_add_co_u32 v6, vcc_lo, v0, 8
	s_wait_alu 0xfffd
	v_add_co_ci_u32_e64 v7, null, 0, v1, vcc_lo
	s_or_b32 s20, s20, s21
	s_lshl_b64 s[8:9], s[14:15], 4
	s_mov_b32 s15, 0
	s_branch .LBB21_4
.LBB21_3:                               ;   in Loop: Header=BB21_4 Depth=1
	s_or_b32 exec_lo, exec_lo, s21
	s_add_co_i32 s19, s19, 0x10000
	s_wait_alu 0xfffe
	s_cmp_lt_u32 s19, s18
	s_cbranch_scc0 .LBB21_9
.LBB21_4:                               ; =>This Loop Header: Depth=1
                                        ;     Child Loop BB21_7 Depth 2
	s_wait_alu 0xfffe
	s_and_saveexec_b32 s21, s1
	s_cbranch_execz .LBB21_3
; %bb.5:                                ;   in Loop: Header=BB21_4 Depth=1
	v_mad_co_u64_u32 v[8:9], null, s8, s19, v[6:7]
	s_load_b32 s0, s[2:3], 0x4
	s_mov_b32 s22, 0
	v_dual_mov_b32 v11, v5 :: v_dual_mov_b32 v10, v4
	v_mov_b32_e32 v0, v9
	s_delay_alu instid0(VALU_DEP_1) | instskip(NEXT) | instid1(VALU_DEP_1)
	v_mad_co_u64_u32 v[0:1], null, s9, s19, v[0:1]
	v_mov_b32_e32 v9, v0
	s_wait_kmcnt 0x0
	s_lshl_b32 s14, s0, 3
	s_wait_alu 0xfffe
	s_mul_u64 s[16:17], s[12:13], s[14:15]
	s_branch .LBB21_7
.LBB21_6:                               ;   in Loop: Header=BB21_7 Depth=2
	v_add_co_u32 v10, vcc_lo, v10, s14
	s_wait_alu 0xfffd
	v_add_co_ci_u32_e64 v11, null, 0, v11, vcc_lo
	global_store_b128 v[8:9], v[0:3], off offset:-8
	v_add_co_u32 v8, s0, v8, s16
	v_cmp_le_i64_e32 vcc_lo, s[10:11], v[10:11]
	s_wait_alu 0xf1ff
	v_add_co_ci_u32_e64 v9, null, s17, v9, s0
	s_or_b32 s22, vcc_lo, s22
	s_delay_alu instid0(SALU_CYCLE_1)
	s_and_not1_b32 exec_lo, exec_lo, s22
	s_cbranch_execz .LBB21_3
.LBB21_7:                               ;   Parent Loop BB21_4 Depth=1
                                        ; =>  This Inner Loop Header: Depth=2
	v_mov_b32_e32 v2, 0
	v_dual_mov_b32 v3, 0 :: v_dual_mov_b32 v0, 0
	v_mov_b32_e32 v1, 0
	s_and_not1_b32 vcc_lo, exec_lo, s20
	s_wait_alu 0xfffe
	s_cbranch_vccnz .LBB21_6
; %bb.8:                                ;   in Loop: Header=BB21_7 Depth=2
	global_load_b128 v[12:15], v[8:9], off offset:-8
	s_wait_loadcnt 0x0
	v_mul_f64_e32 v[0:1], s[6:7], v[14:15]
	v_mul_f64_e32 v[2:3], s[4:5], v[14:15]
	s_delay_alu instid0(VALU_DEP_2) | instskip(NEXT) | instid1(VALU_DEP_2)
	v_fma_f64 v[0:1], s[4:5], v[12:13], -v[0:1]
	v_fma_f64 v[2:3], s[6:7], v[12:13], v[2:3]
	s_branch .LBB21_6
.LBB21_9:
	s_endpgm
	.section	.rodata,"a",@progbits
	.p2align	6, 0x0
	.amdhsa_kernel _ZL25rocblas_symm_scale_kernelILi128ELi8E19rocblas_complex_numIdEPS1_EviiT1_T2_llli
		.amdhsa_group_segment_fixed_size 0
		.amdhsa_private_segment_fixed_size 0
		.amdhsa_kernarg_size 320
		.amdhsa_user_sgpr_count 2
		.amdhsa_user_sgpr_dispatch_ptr 0
		.amdhsa_user_sgpr_queue_ptr 0
		.amdhsa_user_sgpr_kernarg_segment_ptr 1
		.amdhsa_user_sgpr_dispatch_id 0
		.amdhsa_user_sgpr_private_segment_size 0
		.amdhsa_wavefront_size32 1
		.amdhsa_uses_dynamic_stack 0
		.amdhsa_enable_private_segment 0
		.amdhsa_system_sgpr_workgroup_id_x 1
		.amdhsa_system_sgpr_workgroup_id_y 1
		.amdhsa_system_sgpr_workgroup_id_z 1
		.amdhsa_system_sgpr_workgroup_info 0
		.amdhsa_system_vgpr_workitem_id 1
		.amdhsa_next_free_vgpr 16
		.amdhsa_next_free_sgpr 23
		.amdhsa_reserve_vcc 1
		.amdhsa_float_round_mode_32 0
		.amdhsa_float_round_mode_16_64 0
		.amdhsa_float_denorm_mode_32 3
		.amdhsa_float_denorm_mode_16_64 3
		.amdhsa_fp16_overflow 0
		.amdhsa_workgroup_processor_mode 1
		.amdhsa_memory_ordered 1
		.amdhsa_forward_progress 1
		.amdhsa_inst_pref_size 5
		.amdhsa_round_robin_scheduling 0
		.amdhsa_exception_fp_ieee_invalid_op 0
		.amdhsa_exception_fp_denorm_src 0
		.amdhsa_exception_fp_ieee_div_zero 0
		.amdhsa_exception_fp_ieee_overflow 0
		.amdhsa_exception_fp_ieee_underflow 0
		.amdhsa_exception_fp_ieee_inexact 0
		.amdhsa_exception_int_div_zero 0
	.end_amdhsa_kernel
	.section	.text._ZL25rocblas_symm_scale_kernelILi128ELi8E19rocblas_complex_numIdEPS1_EviiT1_T2_llli,"axG",@progbits,_ZL25rocblas_symm_scale_kernelILi128ELi8E19rocblas_complex_numIdEPS1_EviiT1_T2_llli,comdat
.Lfunc_end21:
	.size	_ZL25rocblas_symm_scale_kernelILi128ELi8E19rocblas_complex_numIdEPS1_EviiT1_T2_llli, .Lfunc_end21-_ZL25rocblas_symm_scale_kernelILi128ELi8E19rocblas_complex_numIdEPS1_EviiT1_T2_llli
                                        ; -- End function
	.set _ZL25rocblas_symm_scale_kernelILi128ELi8E19rocblas_complex_numIdEPS1_EviiT1_T2_llli.num_vgpr, 16
	.set _ZL25rocblas_symm_scale_kernelILi128ELi8E19rocblas_complex_numIdEPS1_EviiT1_T2_llli.num_agpr, 0
	.set _ZL25rocblas_symm_scale_kernelILi128ELi8E19rocblas_complex_numIdEPS1_EviiT1_T2_llli.numbered_sgpr, 23
	.set _ZL25rocblas_symm_scale_kernelILi128ELi8E19rocblas_complex_numIdEPS1_EviiT1_T2_llli.num_named_barrier, 0
	.set _ZL25rocblas_symm_scale_kernelILi128ELi8E19rocblas_complex_numIdEPS1_EviiT1_T2_llli.private_seg_size, 0
	.set _ZL25rocblas_symm_scale_kernelILi128ELi8E19rocblas_complex_numIdEPS1_EviiT1_T2_llli.uses_vcc, 1
	.set _ZL25rocblas_symm_scale_kernelILi128ELi8E19rocblas_complex_numIdEPS1_EviiT1_T2_llli.uses_flat_scratch, 0
	.set _ZL25rocblas_symm_scale_kernelILi128ELi8E19rocblas_complex_numIdEPS1_EviiT1_T2_llli.has_dyn_sized_stack, 0
	.set _ZL25rocblas_symm_scale_kernelILi128ELi8E19rocblas_complex_numIdEPS1_EviiT1_T2_llli.has_recursion, 0
	.set _ZL25rocblas_symm_scale_kernelILi128ELi8E19rocblas_complex_numIdEPS1_EviiT1_T2_llli.has_indirect_call, 0
	.section	.AMDGPU.csdata,"",@progbits
; Kernel info:
; codeLenInByte = 580
; TotalNumSgprs: 25
; NumVgprs: 16
; ScratchSize: 0
; MemoryBound: 0
; FloatMode: 240
; IeeeMode: 1
; LDSByteSize: 0 bytes/workgroup (compile time only)
; SGPRBlocks: 0
; VGPRBlocks: 1
; NumSGPRsForWavesPerEU: 25
; NumVGPRsForWavesPerEU: 16
; Occupancy: 16
; WaveLimiterHint : 0
; COMPUTE_PGM_RSRC2:SCRATCH_EN: 0
; COMPUTE_PGM_RSRC2:USER_SGPR: 2
; COMPUTE_PGM_RSRC2:TRAP_HANDLER: 0
; COMPUTE_PGM_RSRC2:TGID_X_EN: 1
; COMPUTE_PGM_RSRC2:TGID_Y_EN: 1
; COMPUTE_PGM_RSRC2:TGID_Z_EN: 1
; COMPUTE_PGM_RSRC2:TIDIG_COMP_CNT: 1
	.section	.text._ZL24rocblas_symm_hemm_kernelILb0ELb0ELi32E19rocblas_complex_numIdEPKS1_PS1_EvbiiT2_T3_lllS6_lllT4_llli,"axG",@progbits,_ZL24rocblas_symm_hemm_kernelILb0ELb0ELi32E19rocblas_complex_numIdEPKS1_PS1_EvbiiT2_T3_lllS6_lllT4_llli,comdat
	.globl	_ZL24rocblas_symm_hemm_kernelILb0ELb0ELi32E19rocblas_complex_numIdEPKS1_PS1_EvbiiT2_T3_lllS6_lllT4_llli ; -- Begin function _ZL24rocblas_symm_hemm_kernelILb0ELb0ELi32E19rocblas_complex_numIdEPKS1_PS1_EvbiiT2_T3_lllS6_lllT4_llli
	.p2align	8
	.type	_ZL24rocblas_symm_hemm_kernelILb0ELb0ELi32E19rocblas_complex_numIdEPKS1_PS1_EvbiiT2_T3_lllS6_lllT4_llli,@function
_ZL24rocblas_symm_hemm_kernelILb0ELb0ELi32E19rocblas_complex_numIdEPKS1_PS1_EvbiiT2_T3_lllS6_lllT4_llli: ; @_ZL24rocblas_symm_hemm_kernelILb0ELb0ELi32E19rocblas_complex_numIdEPKS1_PS1_EvbiiT2_T3_lllS6_lllT4_llli
; %bb.0:
	s_load_b512 s[4:19], s[0:1], 0x10
	s_wait_kmcnt 0x0
	v_cmp_eq_f64_e64 s2, s[4:5], 0
	v_cmp_eq_f64_e64 s3, s[6:7], 0
	s_and_b32 s2, s2, s3
	s_delay_alu instid0(SALU_CYCLE_1)
	s_and_b32 vcc_lo, exec_lo, s2
	s_cbranch_vccnz .LBB22_18
; %bb.1:
	s_load_b32 s33, s[0:1], 0x80
	s_lshr_b32 s34, ttmp7, 16
	s_wait_kmcnt 0x0
	s_cmp_ge_u32 s34, s33
	s_cbranch_scc1 .LBB22_18
; %bb.2:
	s_clause 0x1
	s_load_b96 s[36:38], s[0:1], 0x0
	s_load_b256 s[20:27], s[0:1], 0x50
	v_and_b32_e32 v14, 0x3ff, v0
	v_bfe_u32 v13, v0, 10, 10
	s_load_b128 s[28:31], s[0:1], 0x70
	s_lshl_b64 s[2:3], s[10:11], 4
	s_lshl_b64 s[10:11], s[18:19], 4
	v_lshl_add_u32 v8, ttmp9, 5, v14
	v_lshlrev_b32_e32 v0, 4, v13
	v_lshlrev_b32_e32 v15, 9, v14
	s_add_nc_u64 s[8:9], s[8:9], s[2:3]
	s_add_nc_u64 s[10:11], s[16:17], s[10:11]
	v_ashrrev_i32_e32 v9, 31, v8
	v_or_b32_e32 v16, 0x4000, v0
	v_add_nc_u32_e32 v17, v15, v0
	s_add_nc_u64 s[16:17], s[0:1], 0x88
	s_delay_alu instid0(VALU_DEP_3) | instskip(NEXT) | instid1(VALU_DEP_3)
	v_lshlrev_b64_e32 v[0:1], 4, v[8:9]
	v_add_nc_u32_e32 v18, v16, v15
	s_wait_kmcnt 0x0
	s_bitcmp1_b32 s36, 0
	v_cmp_gt_i32_e64 s3, s37, v8
	s_cselect_b32 s2, -1, 0
	s_add_co_i32 s35, s38, -1
	s_delay_alu instid0(SALU_CYCLE_1) | instskip(NEXT) | instid1(SALU_CYCLE_1)
	s_ashr_i32 s18, s35, 31
	s_lshr_b32 s36, s18, 27
	s_lshl_b64 s[18:19], s[26:27], 4
	s_wait_alu 0xfffe
	s_add_co_i32 s35, s35, s36
	s_add_nc_u64 s[18:19], s[24:25], s[18:19]
	s_and_b32 s26, ttmp7, 0xffff
	s_ashr_i32 s27, s35, 5
	v_add_co_u32 v19, vcc_lo, s18, v0
	s_cmp_le_i32 s26, s27
	v_add_co_ci_u32_e64 v20, null, s19, v1, vcc_lo
	s_cselect_b32 s36, -1, 0
	s_cmp_gt_i32 s37, 0
	s_mov_b32 s35, 0
	s_cselect_b32 s39, -1, 0
	s_branch .LBB22_4
.LBB22_3:                               ;   in Loop: Header=BB22_4 Depth=1
	s_add_co_i32 s34, s34, 0x10000
	s_delay_alu instid0(SALU_CYCLE_1)
	s_cmp_lt_u32 s34, s33
	s_cbranch_scc0 .LBB22_18
.LBB22_4:                               ; =>This Loop Header: Depth=1
                                        ;     Child Loop BB22_7 Depth 2
                                        ;       Child Loop BB22_10 Depth 3
                                        ;         Child Loop BB22_16 Depth 4
	s_wait_alu 0xfffe
	s_and_not1_b32 vcc_lo, exec_lo, s36
	s_wait_alu 0xfffe
	s_cbranch_vccnz .LBB22_3
; %bb.5:                                ;   in Loop: Header=BB22_4 Depth=1
	s_load_b32 s1, s[16:17], 0x4
	s_mul_u64 s[40:41], s[30:31], s[34:35]
	s_mul_u64 s[18:19], s[14:15], s[34:35]
	s_wait_alu 0xfffe
	s_lshl_b64 s[40:41], s[40:41], 4
	s_mul_u64 s[24:25], s[22:23], s[34:35]
	s_wait_alu 0xfffe
	v_add_co_u32 v21, vcc_lo, v19, s40
	s_wait_alu 0xfffd
	v_add_co_ci_u32_e64 v22, null, s41, v20, vcc_lo
	s_lshl_b64 s[18:19], s[18:19], 4
	s_lshl_b64 s[24:25], s[24:25], 4
	s_wait_alu 0xfffe
	s_add_nc_u64 s[18:19], s[8:9], s[18:19]
	s_add_nc_u64 s[24:25], s[10:11], s[24:25]
	s_mov_b32 s40, s26
	s_branch .LBB22_7
.LBB22_6:                               ;   in Loop: Header=BB22_7 Depth=2
	s_wait_kmcnt 0x0
	s_add_co_i32 s40, s40, s1
	s_wait_alu 0xfffe
	s_cmp_gt_i32 s40, s27
	s_cbranch_scc1 .LBB22_3
.LBB22_7:                               ;   Parent Loop BB22_4 Depth=1
                                        ; =>  This Loop Header: Depth=2
                                        ;       Child Loop BB22_10 Depth 3
                                        ;         Child Loop BB22_16 Depth 4
	s_and_not1_b32 vcc_lo, exec_lo, s39
	s_wait_alu 0xfffe
	s_cbranch_vccnz .LBB22_6
; %bb.8:                                ;   in Loop: Header=BB22_7 Depth=2
	v_lshl_add_u32 v4, s40, 5, v13
	s_mov_b32 s42, 0
	s_delay_alu instid0(VALU_DEP_1) | instskip(SKIP_3) | instid1(VALU_DEP_4)
	v_ashrrev_i32_e32 v5, 31, v4
	v_mul_lo_u32 v6, s21, v4
	v_mad_co_u64_u32 v[0:1], null, s20, v4, 0
	v_mul_lo_u32 v9, s29, v4
	v_mul_lo_u32 v7, s20, v5
	v_mad_co_u64_u32 v[2:3], null, s28, v4, 0
	v_mul_lo_u32 v5, s28, v5
	v_cmp_gt_i32_e32 vcc_lo, s38, v4
	s_delay_alu instid0(VALU_DEP_4) | instskip(SKIP_1) | instid1(VALU_DEP_3)
	v_add3_u32 v1, v1, v7, v6
	s_and_b32 s41, s3, vcc_lo
	v_add3_u32 v3, v3, v5, v9
	s_delay_alu instid0(VALU_DEP_2) | instskip(NEXT) | instid1(VALU_DEP_2)
	v_lshlrev_b64_e32 v[0:1], 4, v[0:1]
	v_lshlrev_b64_e32 v[2:3], 4, v[2:3]
	s_delay_alu instid0(VALU_DEP_2) | instskip(SKIP_1) | instid1(VALU_DEP_3)
	v_add_co_u32 v23, s0, s24, v0
	s_wait_alu 0xf1ff
	v_add_co_ci_u32_e64 v24, null, s25, v1, s0
	s_delay_alu instid0(VALU_DEP_3)
	v_add_co_u32 v9, s0, v21, v2
	s_wait_alu 0xf1ff
	v_add_co_ci_u32_e64 v10, null, v22, v3, s0
	s_branch .LBB22_10
.LBB22_9:                               ;   in Loop: Header=BB22_10 Depth=3
	s_wait_alu 0xfffe
	s_or_b32 exec_lo, exec_lo, s0
	s_add_co_i32 s42, s42, 32
	s_wait_loadcnt 0x0
	s_wait_storecnt 0x0
	s_wait_alu 0xfffe
	s_cmp_ge_i32 s42, s37
	s_barrier_signal -1
	s_barrier_wait -1
	global_inv scope:SCOPE_SE
	s_cbranch_scc1 .LBB22_6
.LBB22_10:                              ;   Parent Loop BB22_4 Depth=1
                                        ;     Parent Loop BB22_7 Depth=2
                                        ; =>    This Loop Header: Depth=3
                                        ;         Child Loop BB22_16 Depth 4
	s_wait_alu 0xfffe
	v_add_nc_u32_e32 v0, s42, v13
	v_mov_b32_e32 v4, 0
	v_mov_b32_e32 v5, 0
	s_mov_b32 s43, exec_lo
	v_mov_b32_e32 v6, 0
	v_cndmask_b32_e64 v1, v0, v8, s2
	v_cndmask_b32_e64 v2, v8, v0, s2
	v_mov_b32_e32 v7, 0
	s_delay_alu instid0(VALU_DEP_2) | instskip(SKIP_1) | instid1(VALU_DEP_1)
	v_cmp_gt_i32_e64 s0, v1, v2
	s_wait_alu 0xf1ff
	v_cndmask_b32_e64 v2, v8, v0, s0
	v_cndmask_b32_e64 v3, v0, v8, s0
	v_mov_b32_e32 v0, 0
	v_mov_b32_e32 v1, 0
	s_delay_alu instid0(VALU_DEP_3) | instskip(NEXT) | instid1(VALU_DEP_1)
	v_max_i32_e32 v11, v2, v3
	v_cmpx_gt_i32_e64 s37, v11
	s_cbranch_execz .LBB22_12
; %bb.11:                               ;   in Loop: Header=BB22_10 Depth=3
	v_ashrrev_i32_e32 v6, 31, v3
	v_mul_lo_u32 v7, s13, v3
	v_mad_co_u64_u32 v[4:5], null, s12, v3, 0
	s_delay_alu instid0(VALU_DEP_3) | instskip(NEXT) | instid1(VALU_DEP_1)
	v_mul_lo_u32 v3, s12, v6
	v_add3_u32 v5, v5, v3, v7
	v_ashrrev_i32_e32 v3, 31, v2
	s_delay_alu instid0(VALU_DEP_2) | instskip(NEXT) | instid1(VALU_DEP_2)
	v_lshlrev_b64_e32 v[4:5], 4, v[4:5]
	v_lshlrev_b64_e32 v[2:3], 4, v[2:3]
	s_delay_alu instid0(VALU_DEP_2) | instskip(SKIP_1) | instid1(VALU_DEP_3)
	v_add_co_u32 v4, s0, s18, v4
	s_wait_alu 0xf1ff
	v_add_co_ci_u32_e64 v5, null, s19, v5, s0
	s_delay_alu instid0(VALU_DEP_2) | instskip(SKIP_1) | instid1(VALU_DEP_2)
	v_add_co_u32 v2, s0, v4, v2
	s_wait_alu 0xf1ff
	v_add_co_ci_u32_e64 v3, null, v5, v3, s0
	global_load_b128 v[4:7], v[2:3], off
.LBB22_12:                              ;   in Loop: Header=BB22_10 Depth=3
	s_wait_alu 0xfffe
	s_or_b32 exec_lo, exec_lo, s43
	v_dual_mov_b32 v2, 0 :: v_dual_add_nc_u32 v11, s42, v14
	v_mov_b32_e32 v3, 0
	s_wait_loadcnt 0x0
	ds_store_b128 v17, v[4:7]
	v_cmp_gt_i32_e64 s0, s37, v11
	s_and_b32 s0, s0, vcc_lo
	s_wait_alu 0xfffe
	s_and_saveexec_b32 s43, s0
	s_cbranch_execz .LBB22_14
; %bb.13:                               ;   in Loop: Header=BB22_10 Depth=3
	v_ashrrev_i32_e32 v12, 31, v11
	s_delay_alu instid0(VALU_DEP_1) | instskip(NEXT) | instid1(VALU_DEP_1)
	v_lshlrev_b64_e32 v[0:1], 4, v[11:12]
	v_add_co_u32 v0, s0, v23, v0
	s_wait_alu 0xf1ff
	s_delay_alu instid0(VALU_DEP_2)
	v_add_co_ci_u32_e64 v1, null, v24, v1, s0
	global_load_b128 v[0:3], v[0:1], off
.LBB22_14:                              ;   in Loop: Header=BB22_10 Depth=3
	s_wait_alu 0xfffe
	s_or_b32 exec_lo, exec_lo, s43
	s_wait_loadcnt 0x0
	ds_store_b128 v18, v[0:3]
	s_wait_dscnt 0x0
	s_barrier_signal -1
	s_barrier_wait -1
	global_inv scope:SCOPE_SE
	s_and_saveexec_b32 s0, s41
	s_cbranch_execz .LBB22_9
; %bb.15:                               ;   in Loop: Header=BB22_10 Depth=3
	v_mov_b32_e32 v0, 0
	v_dual_mov_b32 v1, 0 :: v_dual_mov_b32 v2, 0
	v_dual_mov_b32 v3, 0 :: v_dual_mov_b32 v4, v16
	s_mov_b32 s43, 0
.LBB22_16:                              ;   Parent Loop BB22_4 Depth=1
                                        ;     Parent Loop BB22_7 Depth=2
                                        ;       Parent Loop BB22_10 Depth=3
                                        ; =>      This Inner Loop Header: Depth=4
	s_wait_alu 0xfffe
	v_add_nc_u32_e32 v7, s43, v15
	s_addk_co_i32 s43, 0x80
	ds_load_b128 v[25:28], v4
	ds_load_b128 v[29:32], v7
	ds_load_b128 v[33:36], v4 offset:512
	ds_load_b128 v[37:40], v7 offset:16
	s_wait_alu 0xfffe
	s_cmp_eq_u32 s43, 0x200
	s_wait_dscnt 0x2
	v_mul_f64_e32 v[5:6], v[27:28], v[31:32]
	v_mul_f64_e32 v[11:12], v[25:26], v[31:32]
	s_wait_dscnt 0x0
	v_mul_f64_e32 v[47:48], v[35:36], v[39:40]
	v_mul_f64_e32 v[49:50], v[33:34], v[39:40]
	s_delay_alu instid0(VALU_DEP_4) | instskip(NEXT) | instid1(VALU_DEP_4)
	v_fma_f64 v[5:6], v[25:26], v[29:30], -v[5:6]
	v_fma_f64 v[11:12], v[27:28], v[29:30], v[11:12]
	ds_load_b128 v[25:28], v4 offset:1024
	ds_load_b128 v[29:32], v7 offset:32
	ds_load_b128 v[39:42], v4 offset:1536
	ds_load_b128 v[43:46], v7 offset:48
	v_fma_f64 v[33:34], v[33:34], v[37:38], -v[47:48]
	v_fma_f64 v[35:36], v[35:36], v[37:38], v[49:50]
	s_wait_dscnt 0x2
	v_mul_f64_e32 v[51:52], v[27:28], v[31:32]
	v_mul_f64_e32 v[31:32], v[25:26], v[31:32]
	v_add_f64_e32 v[0:1], v[0:1], v[5:6]
	v_add_f64_e32 v[2:3], v[2:3], v[11:12]
	s_wait_dscnt 0x0
	v_mul_f64_e32 v[5:6], v[41:42], v[45:46]
	v_mul_f64_e32 v[11:12], v[39:40], v[45:46]
	v_fma_f64 v[37:38], v[25:26], v[29:30], -v[51:52]
	v_fma_f64 v[45:46], v[27:28], v[29:30], v[31:32]
	v_add_f64_e32 v[47:48], v[0:1], v[33:34]
	v_add_f64_e32 v[49:50], v[2:3], v[35:36]
	ds_load_b128 v[0:3], v4 offset:2048
	ds_load_b128 v[25:28], v7 offset:64
	;; [unrolled: 1-line block ×4, first 2 shown]
	v_fma_f64 v[5:6], v[39:40], v[43:44], -v[5:6]
	v_fma_f64 v[11:12], v[41:42], v[43:44], v[11:12]
	s_wait_dscnt 0x2
	v_mul_f64_e32 v[51:52], v[2:3], v[27:28]
	v_mul_f64_e32 v[27:28], v[0:1], v[27:28]
	s_wait_dscnt 0x0
	v_mul_f64_e32 v[43:44], v[31:32], v[35:36]
	v_add_f64_e32 v[37:38], v[47:48], v[37:38]
	v_add_f64_e32 v[39:40], v[49:50], v[45:46]
	v_mul_f64_e32 v[45:46], v[29:30], v[35:36]
	v_fma_f64 v[47:48], v[0:1], v[25:26], -v[51:52]
	v_fma_f64 v[49:50], v[2:3], v[25:26], v[27:28]
	v_fma_f64 v[29:30], v[29:30], v[33:34], -v[43:44]
	v_add_f64_e32 v[5:6], v[37:38], v[5:6]
	v_add_f64_e32 v[11:12], v[39:40], v[11:12]
	ds_load_b128 v[0:3], v4 offset:3072
	ds_load_b128 v[25:28], v7 offset:96
	;; [unrolled: 1-line block ×4, first 2 shown]
	v_fma_f64 v[31:32], v[31:32], v[33:34], v[45:46]
	v_add_nc_u32_e32 v4, 0x1000, v4
	s_wait_dscnt 0x2
	v_mul_f64_e32 v[51:52], v[2:3], v[27:28]
	v_mul_f64_e32 v[27:28], v[0:1], v[27:28]
	s_wait_dscnt 0x0
	v_mul_f64_e32 v[33:34], v[37:38], v[41:42]
	v_mul_f64_e32 v[41:42], v[35:36], v[41:42]
	v_add_f64_e32 v[5:6], v[5:6], v[47:48]
	v_add_f64_e32 v[11:12], v[11:12], v[49:50]
	v_fma_f64 v[0:1], v[0:1], v[25:26], -v[51:52]
	v_fma_f64 v[2:3], v[2:3], v[25:26], v[27:28]
	v_fma_f64 v[25:26], v[35:36], v[39:40], -v[33:34]
	v_fma_f64 v[27:28], v[37:38], v[39:40], v[41:42]
	v_add_f64_e32 v[5:6], v[5:6], v[29:30]
	v_add_f64_e32 v[11:12], v[11:12], v[31:32]
	s_delay_alu instid0(VALU_DEP_2) | instskip(NEXT) | instid1(VALU_DEP_2)
	v_add_f64_e32 v[0:1], v[5:6], v[0:1]
	v_add_f64_e32 v[2:3], v[11:12], v[2:3]
	s_delay_alu instid0(VALU_DEP_2) | instskip(NEXT) | instid1(VALU_DEP_2)
	v_add_f64_e32 v[0:1], v[0:1], v[25:26]
	v_add_f64_e32 v[2:3], v[2:3], v[27:28]
	s_cbranch_scc0 .LBB22_16
; %bb.17:                               ;   in Loop: Header=BB22_10 Depth=3
	global_load_b128 v[4:7], v[9:10], off
	v_mul_f64_e32 v[11:12], s[6:7], v[2:3]
	v_mul_f64_e32 v[25:26], s[6:7], v[0:1]
	s_delay_alu instid0(VALU_DEP_2) | instskip(NEXT) | instid1(VALU_DEP_2)
	v_fma_f64 v[0:1], s[4:5], v[0:1], -v[11:12]
	v_fma_f64 v[2:3], s[4:5], v[2:3], v[25:26]
	s_wait_loadcnt 0x0
	s_delay_alu instid0(VALU_DEP_2) | instskip(NEXT) | instid1(VALU_DEP_2)
	v_add_f64_e32 v[0:1], v[0:1], v[4:5]
	v_add_f64_e32 v[2:3], v[2:3], v[6:7]
	global_store_b128 v[9:10], v[0:3], off
	s_branch .LBB22_9
.LBB22_18:
	s_endpgm
	.section	.rodata,"a",@progbits
	.p2align	6, 0x0
	.amdhsa_kernel _ZL24rocblas_symm_hemm_kernelILb0ELb0ELi32E19rocblas_complex_numIdEPKS1_PS1_EvbiiT2_T3_lllS6_lllT4_llli
		.amdhsa_group_segment_fixed_size 32768
		.amdhsa_private_segment_fixed_size 0
		.amdhsa_kernarg_size 392
		.amdhsa_user_sgpr_count 2
		.amdhsa_user_sgpr_dispatch_ptr 0
		.amdhsa_user_sgpr_queue_ptr 0
		.amdhsa_user_sgpr_kernarg_segment_ptr 1
		.amdhsa_user_sgpr_dispatch_id 0
		.amdhsa_user_sgpr_private_segment_size 0
		.amdhsa_wavefront_size32 1
		.amdhsa_uses_dynamic_stack 0
		.amdhsa_enable_private_segment 0
		.amdhsa_system_sgpr_workgroup_id_x 1
		.amdhsa_system_sgpr_workgroup_id_y 1
		.amdhsa_system_sgpr_workgroup_id_z 1
		.amdhsa_system_sgpr_workgroup_info 0
		.amdhsa_system_vgpr_workitem_id 1
		.amdhsa_next_free_vgpr 53
		.amdhsa_next_free_sgpr 44
		.amdhsa_reserve_vcc 1
		.amdhsa_float_round_mode_32 0
		.amdhsa_float_round_mode_16_64 0
		.amdhsa_float_denorm_mode_32 3
		.amdhsa_float_denorm_mode_16_64 3
		.amdhsa_fp16_overflow 0
		.amdhsa_workgroup_processor_mode 1
		.amdhsa_memory_ordered 1
		.amdhsa_forward_progress 1
		.amdhsa_inst_pref_size 13
		.amdhsa_round_robin_scheduling 0
		.amdhsa_exception_fp_ieee_invalid_op 0
		.amdhsa_exception_fp_denorm_src 0
		.amdhsa_exception_fp_ieee_div_zero 0
		.amdhsa_exception_fp_ieee_overflow 0
		.amdhsa_exception_fp_ieee_underflow 0
		.amdhsa_exception_fp_ieee_inexact 0
		.amdhsa_exception_int_div_zero 0
	.end_amdhsa_kernel
	.section	.text._ZL24rocblas_symm_hemm_kernelILb0ELb0ELi32E19rocblas_complex_numIdEPKS1_PS1_EvbiiT2_T3_lllS6_lllT4_llli,"axG",@progbits,_ZL24rocblas_symm_hemm_kernelILb0ELb0ELi32E19rocblas_complex_numIdEPKS1_PS1_EvbiiT2_T3_lllS6_lllT4_llli,comdat
.Lfunc_end22:
	.size	_ZL24rocblas_symm_hemm_kernelILb0ELb0ELi32E19rocblas_complex_numIdEPKS1_PS1_EvbiiT2_T3_lllS6_lllT4_llli, .Lfunc_end22-_ZL24rocblas_symm_hemm_kernelILb0ELb0ELi32E19rocblas_complex_numIdEPKS1_PS1_EvbiiT2_T3_lllS6_lllT4_llli
                                        ; -- End function
	.set _ZL24rocblas_symm_hemm_kernelILb0ELb0ELi32E19rocblas_complex_numIdEPKS1_PS1_EvbiiT2_T3_lllS6_lllT4_llli.num_vgpr, 53
	.set _ZL24rocblas_symm_hemm_kernelILb0ELb0ELi32E19rocblas_complex_numIdEPKS1_PS1_EvbiiT2_T3_lllS6_lllT4_llli.num_agpr, 0
	.set _ZL24rocblas_symm_hemm_kernelILb0ELb0ELi32E19rocblas_complex_numIdEPKS1_PS1_EvbiiT2_T3_lllS6_lllT4_llli.numbered_sgpr, 44
	.set _ZL24rocblas_symm_hemm_kernelILb0ELb0ELi32E19rocblas_complex_numIdEPKS1_PS1_EvbiiT2_T3_lllS6_lllT4_llli.num_named_barrier, 0
	.set _ZL24rocblas_symm_hemm_kernelILb0ELb0ELi32E19rocblas_complex_numIdEPKS1_PS1_EvbiiT2_T3_lllS6_lllT4_llli.private_seg_size, 0
	.set _ZL24rocblas_symm_hemm_kernelILb0ELb0ELi32E19rocblas_complex_numIdEPKS1_PS1_EvbiiT2_T3_lllS6_lllT4_llli.uses_vcc, 1
	.set _ZL24rocblas_symm_hemm_kernelILb0ELb0ELi32E19rocblas_complex_numIdEPKS1_PS1_EvbiiT2_T3_lllS6_lllT4_llli.uses_flat_scratch, 0
	.set _ZL24rocblas_symm_hemm_kernelILb0ELb0ELi32E19rocblas_complex_numIdEPKS1_PS1_EvbiiT2_T3_lllS6_lllT4_llli.has_dyn_sized_stack, 0
	.set _ZL24rocblas_symm_hemm_kernelILb0ELb0ELi32E19rocblas_complex_numIdEPKS1_PS1_EvbiiT2_T3_lllS6_lllT4_llli.has_recursion, 0
	.set _ZL24rocblas_symm_hemm_kernelILb0ELb0ELi32E19rocblas_complex_numIdEPKS1_PS1_EvbiiT2_T3_lllS6_lllT4_llli.has_indirect_call, 0
	.section	.AMDGPU.csdata,"",@progbits
; Kernel info:
; codeLenInByte = 1584
; TotalNumSgprs: 46
; NumVgprs: 53
; ScratchSize: 0
; MemoryBound: 1
; FloatMode: 240
; IeeeMode: 1
; LDSByteSize: 32768 bytes/workgroup (compile time only)
; SGPRBlocks: 0
; VGPRBlocks: 6
; NumSGPRsForWavesPerEU: 46
; NumVGPRsForWavesPerEU: 53
; Occupancy: 16
; WaveLimiterHint : 1
; COMPUTE_PGM_RSRC2:SCRATCH_EN: 0
; COMPUTE_PGM_RSRC2:USER_SGPR: 2
; COMPUTE_PGM_RSRC2:TRAP_HANDLER: 0
; COMPUTE_PGM_RSRC2:TGID_X_EN: 1
; COMPUTE_PGM_RSRC2:TGID_Y_EN: 1
; COMPUTE_PGM_RSRC2:TGID_Z_EN: 1
; COMPUTE_PGM_RSRC2:TIDIG_COMP_CNT: 1
	.section	.text._ZL24rocblas_symm_hemm_kernelILb0ELb1ELi32E19rocblas_complex_numIdEPKS1_PS1_EvbiiT2_T3_lllS6_lllT4_llli,"axG",@progbits,_ZL24rocblas_symm_hemm_kernelILb0ELb1ELi32E19rocblas_complex_numIdEPKS1_PS1_EvbiiT2_T3_lllS6_lllT4_llli,comdat
	.globl	_ZL24rocblas_symm_hemm_kernelILb0ELb1ELi32E19rocblas_complex_numIdEPKS1_PS1_EvbiiT2_T3_lllS6_lllT4_llli ; -- Begin function _ZL24rocblas_symm_hemm_kernelILb0ELb1ELi32E19rocblas_complex_numIdEPKS1_PS1_EvbiiT2_T3_lllS6_lllT4_llli
	.p2align	8
	.type	_ZL24rocblas_symm_hemm_kernelILb0ELb1ELi32E19rocblas_complex_numIdEPKS1_PS1_EvbiiT2_T3_lllS6_lllT4_llli,@function
_ZL24rocblas_symm_hemm_kernelILb0ELb1ELi32E19rocblas_complex_numIdEPKS1_PS1_EvbiiT2_T3_lllS6_lllT4_llli: ; @_ZL24rocblas_symm_hemm_kernelILb0ELb1ELi32E19rocblas_complex_numIdEPKS1_PS1_EvbiiT2_T3_lllS6_lllT4_llli
; %bb.0:
	s_load_b512 s[4:19], s[0:1], 0x10
	s_wait_kmcnt 0x0
	v_cmp_eq_f64_e64 s2, s[4:5], 0
	v_cmp_eq_f64_e64 s3, s[6:7], 0
	s_and_b32 s2, s2, s3
	s_delay_alu instid0(SALU_CYCLE_1)
	s_and_b32 vcc_lo, exec_lo, s2
	s_cbranch_vccnz .LBB23_18
; %bb.1:
	s_load_b32 s33, s[0:1], 0x80
	s_lshr_b32 s34, ttmp7, 16
	s_wait_kmcnt 0x0
	s_cmp_ge_u32 s34, s33
	s_cbranch_scc1 .LBB23_18
; %bb.2:
	s_clause 0x1
	s_load_b96 s[36:38], s[0:1], 0x0
	s_load_b256 s[20:27], s[0:1], 0x50
	v_and_b32_e32 v12, 0x3ff, v0
	v_bfe_u32 v13, v0, 10, 10
	s_load_b128 s[28:31], s[0:1], 0x70
	s_lshl_b64 s[10:11], s[10:11], 4
	s_delay_alu instid0(VALU_DEP_2) | instskip(NEXT) | instid1(VALU_DEP_2)
	v_lshl_add_u32 v0, ttmp9, 5, v12
	v_lshlrev_b32_e32 v2, 4, v13
	v_lshlrev_b32_e32 v14, 9, v12
	s_add_nc_u64 s[8:9], s[8:9], s[10:11]
	s_add_nc_u64 s[10:11], s[0:1], 0x88
	v_ashrrev_i32_e32 v1, 31, v0
	v_or_b32_e32 v15, 0x4000, v2
	v_add_nc_u32_e32 v16, v14, v2
	s_delay_alu instid0(VALU_DEP_3) | instskip(NEXT) | instid1(VALU_DEP_3)
	v_lshlrev_b64_e32 v[1:2], 4, v[0:1]
	v_add_nc_u32_e32 v17, v15, v14
	s_wait_kmcnt 0x0
	s_bitcmp1_b32 s36, 0
	v_cmp_gt_i32_e64 s2, s37, v0
	s_cselect_b32 s3, -1, 0
	s_add_co_i32 s35, s38, -1
	s_lshl_b64 s[36:37], s[18:19], 4
	s_ashr_i32 s18, s35, 31
	s_lshl_b64 s[26:27], s[26:27], 4
	s_lshr_b32 s19, s18, 27
	s_wait_alu 0xfffe
	s_add_nc_u64 s[16:17], s[16:17], s[36:37]
	s_add_co_i32 s35, s35, s19
	s_add_nc_u64 s[26:27], s[24:25], s[26:27]
	v_add_co_u32 v18, vcc_lo, s16, v1
	s_and_b32 s18, ttmp7, 0xffff
	s_ashr_i32 s19, s35, 5
	v_add_co_ci_u32_e64 v19, null, s17, v2, vcc_lo
	v_add_co_u32 v20, vcc_lo, s26, v1
	s_cmp_le_i32 s18, s19
	s_wait_alu 0xfffd
	v_add_co_ci_u32_e64 v21, null, s27, v2, vcc_lo
	s_cselect_b32 s24, -1, 0
	s_cmp_gt_i32 s38, 0
	s_mov_b32 s35, 0
	s_cselect_b32 s25, -1, 0
	s_branch .LBB23_4
.LBB23_3:                               ;   in Loop: Header=BB23_4 Depth=1
	s_add_co_i32 s34, s34, 0x10000
	s_delay_alu instid0(SALU_CYCLE_1)
	s_cmp_lt_u32 s34, s33
	s_cbranch_scc0 .LBB23_18
.LBB23_4:                               ; =>This Loop Header: Depth=1
                                        ;     Child Loop BB23_7 Depth 2
                                        ;       Child Loop BB23_10 Depth 3
                                        ;         Child Loop BB23_16 Depth 4
	s_and_not1_b32 vcc_lo, exec_lo, s24
	s_wait_alu 0xfffe
	s_cbranch_vccnz .LBB23_3
; %bb.5:                                ;   in Loop: Header=BB23_4 Depth=1
	s_load_b32 s1, s[10:11], 0x4
	s_mul_u64 s[26:27], s[22:23], s[34:35]
	s_mul_u64 s[36:37], s[30:31], s[34:35]
	s_wait_alu 0xfffe
	s_lshl_b64 s[26:27], s[26:27], 4
	s_mul_u64 s[16:17], s[14:15], s[34:35]
	s_wait_alu 0xfffe
	v_add_co_u32 v22, vcc_lo, v18, s26
	s_wait_alu 0xfffd
	v_add_co_ci_u32_e64 v23, null, s27, v19, vcc_lo
	s_lshl_b64 s[26:27], s[36:37], 4
	s_lshl_b64 s[16:17], s[16:17], 4
	s_wait_alu 0xfffe
	v_add_co_u32 v24, vcc_lo, v20, s26
	s_wait_alu 0xfffd
	v_add_co_ci_u32_e64 v25, null, s27, v21, vcc_lo
	s_add_nc_u64 s[16:17], s[8:9], s[16:17]
	s_mov_b32 s26, s18
	s_branch .LBB23_7
.LBB23_6:                               ;   in Loop: Header=BB23_7 Depth=2
	s_wait_kmcnt 0x0
	s_add_co_i32 s26, s26, s1
	s_wait_alu 0xfffe
	s_cmp_gt_i32 s26, s19
	s_cbranch_scc1 .LBB23_3
.LBB23_7:                               ;   Parent Loop BB23_4 Depth=1
                                        ; =>  This Loop Header: Depth=2
                                        ;       Child Loop BB23_10 Depth 3
                                        ;         Child Loop BB23_16 Depth 4
	s_and_not1_b32 vcc_lo, exec_lo, s25
	s_wait_alu 0xfffe
	s_cbranch_vccnz .LBB23_6
; %bb.8:                                ;   in Loop: Header=BB23_7 Depth=2
	v_lshl_add_u32 v26, s26, 5, v13
	s_mov_b32 s27, 0
	s_delay_alu instid0(VALU_DEP_1) | instskip(SKIP_3) | instid1(VALU_DEP_4)
	v_ashrrev_i32_e32 v2, 31, v26
	v_mul_lo_u32 v3, s29, v26
	v_mad_co_u64_u32 v[0:1], null, s28, v26, 0
	v_cmp_gt_i32_e32 vcc_lo, s38, v26
	v_mul_lo_u32 v2, s28, v2
	s_delay_alu instid0(VALU_DEP_1) | instskip(NEXT) | instid1(VALU_DEP_1)
	v_add3_u32 v1, v1, v2, v3
	v_lshlrev_b64_e32 v[0:1], 4, v[0:1]
	s_delay_alu instid0(VALU_DEP_1) | instskip(SKIP_1) | instid1(VALU_DEP_2)
	v_add_co_u32 v8, s0, v24, v0
	s_wait_alu 0xf1ff
	v_add_co_ci_u32_e64 v9, null, v25, v1, s0
	s_and_b32 s0, s2, vcc_lo
	s_branch .LBB23_10
.LBB23_9:                               ;   in Loop: Header=BB23_10 Depth=3
	s_wait_alu 0xfffe
	s_or_b32 exec_lo, exec_lo, s36
	s_add_co_i32 s27, s27, 32
	s_wait_loadcnt 0x0
	s_wait_storecnt 0x0
	s_wait_alu 0xfffe
	s_cmp_ge_i32 s27, s38
	s_barrier_signal -1
	s_barrier_wait -1
	global_inv scope:SCOPE_SE
	s_cbranch_scc1 .LBB23_6
.LBB23_10:                              ;   Parent Loop BB23_4 Depth=1
                                        ;     Parent Loop BB23_7 Depth=2
                                        ; =>    This Loop Header: Depth=3
                                        ;         Child Loop BB23_16 Depth 4
	s_wait_alu 0xfffe
	v_add_nc_u32_e32 v2, s27, v13
	v_mov_b32_e32 v0, 0
	v_dual_mov_b32 v1, 0 :: v_dual_mov_b32 v4, 0
	v_mov_b32_e32 v6, 0
	s_delay_alu instid0(VALU_DEP_4)
	v_cmp_gt_i32_e32 vcc_lo, s38, v2
	v_mov_b32_e32 v5, 0
	v_mov_b32_e32 v7, 0
	s_and_b32 s37, s2, vcc_lo
	s_wait_alu 0xfffe
	s_and_saveexec_b32 s36, s37
	s_cbranch_execz .LBB23_12
; %bb.11:                               ;   in Loop: Header=BB23_10 Depth=3
	v_ashrrev_i32_e32 v4, 31, v2
	v_mul_lo_u32 v5, s21, v2
	v_mad_co_u64_u32 v[2:3], null, s20, v2, 0
	s_delay_alu instid0(VALU_DEP_3) | instskip(NEXT) | instid1(VALU_DEP_1)
	v_mul_lo_u32 v4, s20, v4
	v_add3_u32 v3, v3, v4, v5
	s_delay_alu instid0(VALU_DEP_1) | instskip(NEXT) | instid1(VALU_DEP_1)
	v_lshlrev_b64_e32 v[2:3], 4, v[2:3]
	v_add_co_u32 v2, vcc_lo, v22, v2
	s_wait_alu 0xfffd
	s_delay_alu instid0(VALU_DEP_2)
	v_add_co_ci_u32_e64 v3, null, v23, v3, vcc_lo
	global_load_b128 v[4:7], v[2:3], off
.LBB23_12:                              ;   in Loop: Header=BB23_10 Depth=3
	s_wait_alu 0xfffe
	s_or_b32 exec_lo, exec_lo, s36
	v_add_nc_u32_e32 v2, s27, v12
	s_mov_b32 s36, exec_lo
	s_wait_loadcnt 0x0
	ds_store_b128 v16, v[4:7]
	v_cndmask_b32_e64 v3, v26, v2, s3
	v_cndmask_b32_e64 v10, v2, v26, s3
	s_delay_alu instid0(VALU_DEP_1) | instskip(SKIP_4) | instid1(VALU_DEP_2)
	v_cmp_gt_i32_e32 vcc_lo, v3, v10
	s_wait_alu 0xfffd
	v_cndmask_b32_e32 v10, v2, v26, vcc_lo
	v_dual_cndmask_b32 v11, v26, v2 :: v_dual_mov_b32 v2, 0
	v_mov_b32_e32 v3, 0
	v_max_i32_e32 v27, v10, v11
	s_delay_alu instid0(VALU_DEP_1)
	v_cmpx_gt_i32_e64 s38, v27
	s_cbranch_execz .LBB23_14
; %bb.13:                               ;   in Loop: Header=BB23_10 Depth=3
	v_ashrrev_i32_e32 v2, 31, v11
	v_mul_lo_u32 v3, s13, v11
	v_mad_co_u64_u32 v[0:1], null, s12, v11, 0
	v_ashrrev_i32_e32 v11, 31, v10
	s_delay_alu instid0(VALU_DEP_4) | instskip(NEXT) | instid1(VALU_DEP_1)
	v_mul_lo_u32 v2, s12, v2
	v_add3_u32 v1, v1, v2, v3
	s_delay_alu instid0(VALU_DEP_3) | instskip(NEXT) | instid1(VALU_DEP_2)
	v_lshlrev_b64_e32 v[2:3], 4, v[10:11]
	v_lshlrev_b64_e32 v[0:1], 4, v[0:1]
	s_delay_alu instid0(VALU_DEP_1) | instskip(SKIP_1) | instid1(VALU_DEP_2)
	v_add_co_u32 v0, vcc_lo, s16, v0
	s_wait_alu 0xfffd
	v_add_co_ci_u32_e64 v1, null, s17, v1, vcc_lo
	s_delay_alu instid0(VALU_DEP_2) | instskip(SKIP_1) | instid1(VALU_DEP_2)
	v_add_co_u32 v0, vcc_lo, v0, v2
	s_wait_alu 0xfffd
	v_add_co_ci_u32_e64 v1, null, v1, v3, vcc_lo
	global_load_b128 v[0:3], v[0:1], off
.LBB23_14:                              ;   in Loop: Header=BB23_10 Depth=3
	s_wait_alu 0xfffe
	s_or_b32 exec_lo, exec_lo, s36
	s_wait_loadcnt 0x0
	ds_store_b128 v17, v[0:3]
	s_wait_dscnt 0x0
	s_barrier_signal -1
	s_barrier_wait -1
	global_inv scope:SCOPE_SE
	s_and_saveexec_b32 s36, s0
	s_cbranch_execz .LBB23_9
; %bb.15:                               ;   in Loop: Header=BB23_10 Depth=3
	v_mov_b32_e32 v0, 0
	v_dual_mov_b32 v1, 0 :: v_dual_mov_b32 v2, 0
	v_dual_mov_b32 v3, 0 :: v_dual_mov_b32 v4, v15
	s_mov_b32 s37, 0
.LBB23_16:                              ;   Parent Loop BB23_4 Depth=1
                                        ;     Parent Loop BB23_7 Depth=2
                                        ;       Parent Loop BB23_10 Depth=3
                                        ; =>      This Inner Loop Header: Depth=4
	s_wait_alu 0xfffe
	v_add_nc_u32_e32 v7, s37, v14
	s_addk_co_i32 s37, 0x80
	ds_load_b128 v[27:30], v4
	ds_load_b128 v[31:34], v7
	ds_load_b128 v[35:38], v4 offset:512
	ds_load_b128 v[39:42], v7 offset:16
	s_wait_alu 0xfffe
	s_cmp_eq_u32 s37, 0x200
	s_wait_dscnt 0x2
	v_mul_f64_e32 v[5:6], v[29:30], v[33:34]
	v_mul_f64_e32 v[10:11], v[27:28], v[33:34]
	s_wait_dscnt 0x0
	v_mul_f64_e32 v[49:50], v[37:38], v[41:42]
	v_mul_f64_e32 v[51:52], v[35:36], v[41:42]
	s_delay_alu instid0(VALU_DEP_4) | instskip(NEXT) | instid1(VALU_DEP_4)
	v_fma_f64 v[5:6], v[27:28], v[31:32], -v[5:6]
	v_fma_f64 v[10:11], v[29:30], v[31:32], v[10:11]
	ds_load_b128 v[27:30], v4 offset:1024
	ds_load_b128 v[31:34], v7 offset:32
	;; [unrolled: 1-line block ×4, first 2 shown]
	v_fma_f64 v[35:36], v[35:36], v[39:40], -v[49:50]
	v_fma_f64 v[37:38], v[37:38], v[39:40], v[51:52]
	s_wait_dscnt 0x2
	v_mul_f64_e32 v[53:54], v[29:30], v[33:34]
	v_mul_f64_e32 v[33:34], v[27:28], v[33:34]
	v_add_f64_e32 v[0:1], v[0:1], v[5:6]
	v_add_f64_e32 v[2:3], v[2:3], v[10:11]
	s_wait_dscnt 0x0
	v_mul_f64_e32 v[5:6], v[43:44], v[47:48]
	v_mul_f64_e32 v[10:11], v[41:42], v[47:48]
	v_fma_f64 v[39:40], v[27:28], v[31:32], -v[53:54]
	v_fma_f64 v[47:48], v[29:30], v[31:32], v[33:34]
	v_add_f64_e32 v[49:50], v[0:1], v[35:36]
	v_add_f64_e32 v[51:52], v[2:3], v[37:38]
	ds_load_b128 v[0:3], v4 offset:2048
	ds_load_b128 v[27:30], v7 offset:64
	ds_load_b128 v[31:34], v4 offset:2560
	ds_load_b128 v[35:38], v7 offset:80
	v_fma_f64 v[5:6], v[41:42], v[45:46], -v[5:6]
	v_fma_f64 v[10:11], v[43:44], v[45:46], v[10:11]
	s_wait_dscnt 0x2
	v_mul_f64_e32 v[53:54], v[2:3], v[29:30]
	v_mul_f64_e32 v[29:30], v[0:1], v[29:30]
	s_wait_dscnt 0x0
	v_mul_f64_e32 v[45:46], v[33:34], v[37:38]
	v_add_f64_e32 v[39:40], v[49:50], v[39:40]
	v_add_f64_e32 v[41:42], v[51:52], v[47:48]
	v_mul_f64_e32 v[47:48], v[31:32], v[37:38]
	v_fma_f64 v[49:50], v[0:1], v[27:28], -v[53:54]
	v_fma_f64 v[51:52], v[2:3], v[27:28], v[29:30]
	v_fma_f64 v[31:32], v[31:32], v[35:36], -v[45:46]
	v_add_f64_e32 v[5:6], v[39:40], v[5:6]
	v_add_f64_e32 v[10:11], v[41:42], v[10:11]
	ds_load_b128 v[0:3], v4 offset:3072
	ds_load_b128 v[27:30], v7 offset:96
	;; [unrolled: 1-line block ×4, first 2 shown]
	v_fma_f64 v[33:34], v[33:34], v[35:36], v[47:48]
	v_add_nc_u32_e32 v4, 0x1000, v4
	s_wait_dscnt 0x2
	v_mul_f64_e32 v[53:54], v[2:3], v[29:30]
	v_mul_f64_e32 v[29:30], v[0:1], v[29:30]
	s_wait_dscnt 0x0
	v_mul_f64_e32 v[35:36], v[39:40], v[43:44]
	v_mul_f64_e32 v[43:44], v[37:38], v[43:44]
	v_add_f64_e32 v[5:6], v[5:6], v[49:50]
	v_add_f64_e32 v[10:11], v[10:11], v[51:52]
	v_fma_f64 v[0:1], v[0:1], v[27:28], -v[53:54]
	v_fma_f64 v[2:3], v[2:3], v[27:28], v[29:30]
	v_fma_f64 v[27:28], v[37:38], v[41:42], -v[35:36]
	v_fma_f64 v[29:30], v[39:40], v[41:42], v[43:44]
	v_add_f64_e32 v[5:6], v[5:6], v[31:32]
	v_add_f64_e32 v[10:11], v[10:11], v[33:34]
	s_delay_alu instid0(VALU_DEP_2) | instskip(NEXT) | instid1(VALU_DEP_2)
	v_add_f64_e32 v[0:1], v[5:6], v[0:1]
	v_add_f64_e32 v[2:3], v[10:11], v[2:3]
	s_delay_alu instid0(VALU_DEP_2) | instskip(NEXT) | instid1(VALU_DEP_2)
	v_add_f64_e32 v[0:1], v[0:1], v[27:28]
	v_add_f64_e32 v[2:3], v[2:3], v[29:30]
	s_cbranch_scc0 .LBB23_16
; %bb.17:                               ;   in Loop: Header=BB23_10 Depth=3
	global_load_b128 v[4:7], v[8:9], off
	v_mul_f64_e32 v[10:11], s[6:7], v[2:3]
	v_mul_f64_e32 v[27:28], s[6:7], v[0:1]
	s_delay_alu instid0(VALU_DEP_2) | instskip(NEXT) | instid1(VALU_DEP_2)
	v_fma_f64 v[0:1], s[4:5], v[0:1], -v[10:11]
	v_fma_f64 v[2:3], s[4:5], v[2:3], v[27:28]
	s_wait_loadcnt 0x0
	s_delay_alu instid0(VALU_DEP_2) | instskip(NEXT) | instid1(VALU_DEP_2)
	v_add_f64_e32 v[0:1], v[0:1], v[4:5]
	v_add_f64_e32 v[2:3], v[2:3], v[6:7]
	global_store_b128 v[8:9], v[0:3], off
	s_branch .LBB23_9
.LBB23_18:
	s_endpgm
	.section	.rodata,"a",@progbits
	.p2align	6, 0x0
	.amdhsa_kernel _ZL24rocblas_symm_hemm_kernelILb0ELb1ELi32E19rocblas_complex_numIdEPKS1_PS1_EvbiiT2_T3_lllS6_lllT4_llli
		.amdhsa_group_segment_fixed_size 32768
		.amdhsa_private_segment_fixed_size 0
		.amdhsa_kernarg_size 392
		.amdhsa_user_sgpr_count 2
		.amdhsa_user_sgpr_dispatch_ptr 0
		.amdhsa_user_sgpr_queue_ptr 0
		.amdhsa_user_sgpr_kernarg_segment_ptr 1
		.amdhsa_user_sgpr_dispatch_id 0
		.amdhsa_user_sgpr_private_segment_size 0
		.amdhsa_wavefront_size32 1
		.amdhsa_uses_dynamic_stack 0
		.amdhsa_enable_private_segment 0
		.amdhsa_system_sgpr_workgroup_id_x 1
		.amdhsa_system_sgpr_workgroup_id_y 1
		.amdhsa_system_sgpr_workgroup_id_z 1
		.amdhsa_system_sgpr_workgroup_info 0
		.amdhsa_system_vgpr_workitem_id 1
		.amdhsa_next_free_vgpr 55
		.amdhsa_next_free_sgpr 39
		.amdhsa_reserve_vcc 1
		.amdhsa_float_round_mode_32 0
		.amdhsa_float_round_mode_16_64 0
		.amdhsa_float_denorm_mode_32 3
		.amdhsa_float_denorm_mode_16_64 3
		.amdhsa_fp16_overflow 0
		.amdhsa_workgroup_processor_mode 1
		.amdhsa_memory_ordered 1
		.amdhsa_forward_progress 1
		.amdhsa_inst_pref_size 13
		.amdhsa_round_robin_scheduling 0
		.amdhsa_exception_fp_ieee_invalid_op 0
		.amdhsa_exception_fp_denorm_src 0
		.amdhsa_exception_fp_ieee_div_zero 0
		.amdhsa_exception_fp_ieee_overflow 0
		.amdhsa_exception_fp_ieee_underflow 0
		.amdhsa_exception_fp_ieee_inexact 0
		.amdhsa_exception_int_div_zero 0
	.end_amdhsa_kernel
	.section	.text._ZL24rocblas_symm_hemm_kernelILb0ELb1ELi32E19rocblas_complex_numIdEPKS1_PS1_EvbiiT2_T3_lllS6_lllT4_llli,"axG",@progbits,_ZL24rocblas_symm_hemm_kernelILb0ELb1ELi32E19rocblas_complex_numIdEPKS1_PS1_EvbiiT2_T3_lllS6_lllT4_llli,comdat
.Lfunc_end23:
	.size	_ZL24rocblas_symm_hemm_kernelILb0ELb1ELi32E19rocblas_complex_numIdEPKS1_PS1_EvbiiT2_T3_lllS6_lllT4_llli, .Lfunc_end23-_ZL24rocblas_symm_hemm_kernelILb0ELb1ELi32E19rocblas_complex_numIdEPKS1_PS1_EvbiiT2_T3_lllS6_lllT4_llli
                                        ; -- End function
	.set _ZL24rocblas_symm_hemm_kernelILb0ELb1ELi32E19rocblas_complex_numIdEPKS1_PS1_EvbiiT2_T3_lllS6_lllT4_llli.num_vgpr, 55
	.set _ZL24rocblas_symm_hemm_kernelILb0ELb1ELi32E19rocblas_complex_numIdEPKS1_PS1_EvbiiT2_T3_lllS6_lllT4_llli.num_agpr, 0
	.set _ZL24rocblas_symm_hemm_kernelILb0ELb1ELi32E19rocblas_complex_numIdEPKS1_PS1_EvbiiT2_T3_lllS6_lllT4_llli.numbered_sgpr, 39
	.set _ZL24rocblas_symm_hemm_kernelILb0ELb1ELi32E19rocblas_complex_numIdEPKS1_PS1_EvbiiT2_T3_lllS6_lllT4_llli.num_named_barrier, 0
	.set _ZL24rocblas_symm_hemm_kernelILb0ELb1ELi32E19rocblas_complex_numIdEPKS1_PS1_EvbiiT2_T3_lllS6_lllT4_llli.private_seg_size, 0
	.set _ZL24rocblas_symm_hemm_kernelILb0ELb1ELi32E19rocblas_complex_numIdEPKS1_PS1_EvbiiT2_T3_lllS6_lllT4_llli.uses_vcc, 1
	.set _ZL24rocblas_symm_hemm_kernelILb0ELb1ELi32E19rocblas_complex_numIdEPKS1_PS1_EvbiiT2_T3_lllS6_lllT4_llli.uses_flat_scratch, 0
	.set _ZL24rocblas_symm_hemm_kernelILb0ELb1ELi32E19rocblas_complex_numIdEPKS1_PS1_EvbiiT2_T3_lllS6_lllT4_llli.has_dyn_sized_stack, 0
	.set _ZL24rocblas_symm_hemm_kernelILb0ELb1ELi32E19rocblas_complex_numIdEPKS1_PS1_EvbiiT2_T3_lllS6_lllT4_llli.has_recursion, 0
	.set _ZL24rocblas_symm_hemm_kernelILb0ELb1ELi32E19rocblas_complex_numIdEPKS1_PS1_EvbiiT2_T3_lllS6_lllT4_llli.has_indirect_call, 0
	.section	.AMDGPU.csdata,"",@progbits
; Kernel info:
; codeLenInByte = 1576
; TotalNumSgprs: 41
; NumVgprs: 55
; ScratchSize: 0
; MemoryBound: 1
; FloatMode: 240
; IeeeMode: 1
; LDSByteSize: 32768 bytes/workgroup (compile time only)
; SGPRBlocks: 0
; VGPRBlocks: 6
; NumSGPRsForWavesPerEU: 41
; NumVGPRsForWavesPerEU: 55
; Occupancy: 16
; WaveLimiterHint : 1
; COMPUTE_PGM_RSRC2:SCRATCH_EN: 0
; COMPUTE_PGM_RSRC2:USER_SGPR: 2
; COMPUTE_PGM_RSRC2:TRAP_HANDLER: 0
; COMPUTE_PGM_RSRC2:TGID_X_EN: 1
; COMPUTE_PGM_RSRC2:TGID_Y_EN: 1
; COMPUTE_PGM_RSRC2:TGID_Z_EN: 1
; COMPUTE_PGM_RSRC2:TIDIG_COMP_CNT: 1
	.section	.text._ZL24rocblas_symm_hemm_kernelILb1ELb0ELi32EPK19rocblas_complex_numIfES3_PS1_EvbiiT2_T3_lllS6_lllT4_llli,"axG",@progbits,_ZL24rocblas_symm_hemm_kernelILb1ELb0ELi32EPK19rocblas_complex_numIfES3_PS1_EvbiiT2_T3_lllS6_lllT4_llli,comdat
	.globl	_ZL24rocblas_symm_hemm_kernelILb1ELb0ELi32EPK19rocblas_complex_numIfES3_PS1_EvbiiT2_T3_lllS6_lllT4_llli ; -- Begin function _ZL24rocblas_symm_hemm_kernelILb1ELb0ELi32EPK19rocblas_complex_numIfES3_PS1_EvbiiT2_T3_lllS6_lllT4_llli
	.p2align	8
	.type	_ZL24rocblas_symm_hemm_kernelILb1ELb0ELi32EPK19rocblas_complex_numIfES3_PS1_EvbiiT2_T3_lllS6_lllT4_llli,@function
_ZL24rocblas_symm_hemm_kernelILb1ELb0ELi32EPK19rocblas_complex_numIfES3_PS1_EvbiiT2_T3_lllS6_lllT4_llli: ; @_ZL24rocblas_symm_hemm_kernelILb1ELb0ELi32EPK19rocblas_complex_numIfES3_PS1_EvbiiT2_T3_lllS6_lllT4_llli
; %bb.0:
	s_load_b512 s[4:19], s[0:1], 0x10
	s_wait_kmcnt 0x0
	s_load_b64 s[4:5], s[4:5], 0x0
	s_wait_kmcnt 0x0
	s_cmp_eq_f32 s4, 0
	s_cselect_b32 s2, -1, 0
	s_cmp_eq_f32 s5, 0
	s_cselect_b32 s3, -1, 0
	s_delay_alu instid0(SALU_CYCLE_1) | instskip(NEXT) | instid1(SALU_CYCLE_1)
	s_and_b32 s2, s2, s3
	s_and_b32 vcc_lo, exec_lo, s2
	s_cbranch_vccnz .LBB24_24
; %bb.1:
	s_load_b32 s31, s[0:1], 0x78
	s_lshr_b32 s34, ttmp7, 16
	s_wait_kmcnt 0x0
	s_cmp_ge_u32 s34, s31
	s_cbranch_scc1 .LBB24_24
; %bb.2:
	s_load_b96 s[28:30], s[0:1], 0x0
	v_and_b32_e32 v15, 0x3ff, v0
	s_load_b256 s[20:27], s[0:1], 0x50
	v_bfe_u32 v16, v0, 10, 10
	s_lshl_b64 s[2:3], s[16:17], 3
	s_lshl_b64 s[16:17], s[8:9], 3
	v_lshl_add_u32 v0, ttmp9, 5, v15
	s_load_b64 s[8:9], s[0:1], 0x70
	v_lshlrev_b32_e32 v2, 3, v16
	v_lshlrev_b32_e32 v17, 8, v15
	s_add_nc_u64 s[14:15], s[14:15], s[2:3]
	v_ashrrev_i32_e32 v1, 31, v0
	v_mul_lo_u32 v5, s11, v0
	v_mad_co_u64_u32 v[3:4], null, s10, v0, 0
	v_or_b32_e32 v18, 0x2000, v2
	s_delay_alu instid0(VALU_DEP_4)
	v_mul_lo_u32 v6, s10, v1
	v_add_nc_u32_e32 v19, v17, v2
	v_lshlrev_b64_e32 v[1:2], 3, v[0:1]
	s_add_nc_u64 s[6:7], s[6:7], s[16:17]
	s_wait_kmcnt 0x0
	s_bitcmp1_b32 s28, 0
	v_add_nc_u32_e32 v20, v18, v17
	s_cselect_b32 s2, -1, 0
	s_add_co_i32 s28, s30, -1
	s_lshl_b64 s[36:37], s[24:25], 3
	s_ashr_i32 s33, s28, 31
	v_add3_u32 v4, v4, v6, v5
	s_lshr_b32 s33, s33, 27
	s_add_nc_u64 s[22:23], s[22:23], s[36:37]
	s_add_co_i32 s28, s28, s33
	s_and_b32 s24, ttmp7, 0xffff
	s_ashr_i32 s25, s28, 5
	v_add_co_u32 v21, vcc_lo, s22, v1
	s_cmp_le_i32 s24, s25
	v_lshlrev_b64_e32 v[3:4], 3, v[3:4]
	v_cmp_gt_i32_e64 s3, s29, v0
	v_add_co_ci_u32_e64 v22, null, s23, v2, vcc_lo
	v_add_nc_u32_e32 v23, 0x800, v18
	v_add_nc_u32_e32 v24, 0x1000, v18
	;; [unrolled: 1-line block ×3, first 2 shown]
	s_cselect_b32 s28, -1, 0
	s_cmp_gt_i32 s29, 0
	s_mov_b32 s35, 0
	s_cselect_b32 s33, -1, 0
	s_add_nc_u64 s[16:17], s[0:1], 0x80
	s_branch .LBB24_4
.LBB24_3:                               ;   in Loop: Header=BB24_4 Depth=1
	s_add_co_i32 s34, s34, 0x10000
	s_delay_alu instid0(SALU_CYCLE_1)
	s_cmp_lt_u32 s34, s31
	s_cbranch_scc0 .LBB24_24
.LBB24_4:                               ; =>This Loop Header: Depth=1
                                        ;     Child Loop BB24_7 Depth 2
                                        ;       Child Loop BB24_10 Depth 3
	s_wait_alu 0xfffe
	s_and_not1_b32 vcc_lo, exec_lo, s28
	s_wait_alu 0xfffe
	s_cbranch_vccnz .LBB24_3
; %bb.5:                                ;   in Loop: Header=BB24_4 Depth=1
	s_mul_u64 s[22:23], s[12:13], s[34:35]
	s_load_b32 s36, s[16:17], 0x4
	s_lshl_b64 s[22:23], s[22:23], 3
	s_mul_u64 s[38:39], s[8:9], s[34:35]
	s_wait_alu 0xfffe
	s_add_nc_u64 s[22:23], s[6:7], s[22:23]
	s_mul_u64 s[0:1], s[20:21], s[34:35]
	s_wait_alu 0xfffe
	v_add_co_u32 v26, vcc_lo, s22, v1
	s_wait_alu 0xfffd
	v_add_co_ci_u32_e64 v27, null, s23, v2, vcc_lo
	v_add_co_u32 v28, vcc_lo, s22, v3
	s_wait_alu 0xfffd
	v_add_co_ci_u32_e64 v29, null, s23, v4, vcc_lo
	s_lshl_b64 s[22:23], s[38:39], 3
	s_lshl_b64 s[0:1], s[0:1], 3
	s_wait_alu 0xfffe
	v_add_co_u32 v30, vcc_lo, v21, s22
	s_wait_alu 0xfffd
	v_add_co_ci_u32_e64 v31, null, s23, v22, vcc_lo
	v_add_co_u32 v5, vcc_lo, v26, v3
	s_wait_alu 0xfffd
	v_add_co_ci_u32_e64 v6, null, v27, v4, vcc_lo
	s_add_nc_u64 s[22:23], s[14:15], s[0:1]
	s_mov_b32 s37, s24
	s_branch .LBB24_7
.LBB24_6:                               ;   in Loop: Header=BB24_7 Depth=2
	s_wait_kmcnt 0x0
	s_add_co_i32 s37, s37, s36
	s_wait_alu 0xfffe
	s_cmp_gt_i32 s37, s25
	s_cbranch_scc1 .LBB24_3
.LBB24_7:                               ;   Parent Loop BB24_4 Depth=1
                                        ; =>  This Loop Header: Depth=2
                                        ;       Child Loop BB24_10 Depth 3
	s_and_not1_b32 vcc_lo, exec_lo, s33
	s_wait_alu 0xfffe
	s_cbranch_vccnz .LBB24_6
; %bb.8:                                ;   in Loop: Header=BB24_7 Depth=2
	v_lshl_add_u32 v11, s37, 5, v16
	s_mov_b32 s39, 0
	s_delay_alu instid0(VALU_DEP_1) | instskip(SKIP_3) | instid1(VALU_DEP_4)
	v_ashrrev_i32_e32 v12, 31, v11
	v_mul_lo_u32 v13, s19, v11
	v_mad_co_u64_u32 v[7:8], null, s18, v11, 0
	v_mul_lo_u32 v32, s27, v11
	v_mul_lo_u32 v14, s18, v12
	v_mad_co_u64_u32 v[9:10], null, s26, v11, 0
	v_mul_lo_u32 v12, s26, v12
	v_cmp_gt_i32_e32 vcc_lo, s30, v11
	s_delay_alu instid0(VALU_DEP_4) | instskip(SKIP_1) | instid1(VALU_DEP_3)
	v_add3_u32 v8, v8, v14, v13
	s_and_b32 s38, s3, vcc_lo
	v_add3_u32 v10, v10, v12, v32
	s_delay_alu instid0(VALU_DEP_2) | instskip(NEXT) | instid1(VALU_DEP_2)
	v_lshlrev_b64_e32 v[7:8], 3, v[7:8]
	v_lshlrev_b64_e32 v[9:10], 3, v[9:10]
	s_delay_alu instid0(VALU_DEP_2) | instskip(SKIP_1) | instid1(VALU_DEP_3)
	v_add_co_u32 v32, s0, s22, v7
	s_wait_alu 0xf1ff
	v_add_co_ci_u32_e64 v33, null, s23, v8, s0
	s_delay_alu instid0(VALU_DEP_3)
	v_add_co_u32 v7, s0, v30, v9
	s_wait_alu 0xf1ff
	v_add_co_ci_u32_e64 v8, null, v31, v10, s0
	s_branch .LBB24_10
.LBB24_9:                               ;   in Loop: Header=BB24_10 Depth=3
	s_wait_alu 0xfffe
	s_or_b32 exec_lo, exec_lo, s0
	s_add_co_i32 s39, s39, 32
	s_wait_loadcnt 0x0
	s_wait_storecnt 0x0
	s_wait_alu 0xfffe
	s_cmp_ge_i32 s39, s29
	s_barrier_signal -1
	s_barrier_wait -1
	global_inv scope:SCOPE_SE
	s_cbranch_scc1 .LBB24_6
.LBB24_10:                              ;   Parent Loop BB24_4 Depth=1
                                        ;     Parent Loop BB24_7 Depth=2
                                        ; =>    This Inner Loop Header: Depth=3
	s_wait_alu 0xfffe
	v_add_nc_u32_e32 v10, s39, v16
	s_mov_b32 s40, exec_lo
	s_delay_alu instid0(VALU_DEP_1) | instskip(SKIP_1) | instid1(VALU_DEP_1)
	v_cndmask_b32_e64 v12, v10, v0, s2
	v_cndmask_b32_e64 v13, v0, v10, s2
	v_cmp_gt_i32_e64 s0, v12, v13
	s_wait_alu 0xf1ff
	s_delay_alu instid0(VALU_DEP_1) | instskip(SKIP_3) | instid1(VALU_DEP_3)
	v_cndmask_b32_e64 v9, v0, v10, s0
	v_cndmask_b32_e64 v11, v10, v0, s0
	v_cmp_le_i32_e64 s0, v12, v13
	v_mov_b32_e32 v12, 0
	v_max_i32_e32 v14, v9, v11
	v_mov_b32_e32 v9, 0
	v_mov_b32_e32 v11, 0
	s_delay_alu instid0(VALU_DEP_3)
	v_cmpx_gt_i32_e64 s29, v14
	s_cbranch_execz .LBB24_20
; %bb.11:                               ;   in Loop: Header=BB24_10 Depth=3
                                        ; implicit-def: $vgpr12
	s_and_saveexec_b32 s1, s0
	s_wait_alu 0xfffe
	s_xor_b32 s1, exec_lo, s1
	s_cbranch_execz .LBB24_17
; %bb.12:                               ;   in Loop: Header=BB24_10 Depth=3
	s_mov_b32 s41, exec_lo
                                        ; implicit-def: $vgpr12
	v_cmpx_ne_u32_e64 v10, v0
	s_xor_b32 s41, exec_lo, s41
	s_cbranch_execz .LBB24_14
; %bb.13:                               ;   in Loop: Header=BB24_10 Depth=3
	v_ashrrev_i32_e32 v12, 31, v10
	v_mul_lo_u32 v13, s11, v10
	v_mad_co_u64_u32 v[10:11], null, s10, v10, 0
	s_delay_alu instid0(VALU_DEP_3) | instskip(NEXT) | instid1(VALU_DEP_1)
	v_mul_lo_u32 v12, s10, v12
	v_add3_u32 v11, v11, v12, v13
	s_delay_alu instid0(VALU_DEP_1) | instskip(NEXT) | instid1(VALU_DEP_1)
	v_lshlrev_b64_e32 v[10:11], 3, v[10:11]
	v_add_co_u32 v10, s0, v26, v10
	s_wait_alu 0xf1ff
	s_delay_alu instid0(VALU_DEP_2)
	v_add_co_ci_u32_e64 v11, null, v27, v11, s0
	global_load_b64 v[11:12], v[10:11], off
.LBB24_14:                              ;   in Loop: Header=BB24_10 Depth=3
	s_and_not1_saveexec_b32 s0, s41
	s_cbranch_execz .LBB24_16
; %bb.15:                               ;   in Loop: Header=BB24_10 Depth=3
	s_wait_loadcnt 0x0
	global_load_b32 v11, v[5:6], off
	v_mov_b32_e32 v12, 0
.LBB24_16:                              ;   in Loop: Header=BB24_10 Depth=3
	s_wait_alu 0xfffe
	s_or_b32 exec_lo, exec_lo, s0
                                        ; implicit-def: $vgpr10
.LBB24_17:                              ;   in Loop: Header=BB24_10 Depth=3
	s_wait_alu 0xfffe
	s_and_not1_saveexec_b32 s1, s1
	s_cbranch_execz .LBB24_19
; %bb.18:                               ;   in Loop: Header=BB24_10 Depth=3
	s_wait_loadcnt 0x0
	v_ashrrev_i32_e32 v11, 31, v10
	s_delay_alu instid0(VALU_DEP_1) | instskip(NEXT) | instid1(VALU_DEP_1)
	v_lshlrev_b64_e32 v[10:11], 3, v[10:11]
	v_add_co_u32 v10, s0, v28, v10
	s_wait_alu 0xf1ff
	s_delay_alu instid0(VALU_DEP_2)
	v_add_co_ci_u32_e64 v11, null, v29, v11, s0
	global_load_b64 v[11:12], v[10:11], off
	s_wait_loadcnt 0x0
	v_xor_b32_e32 v12, 0x80000000, v12
.LBB24_19:                              ;   in Loop: Header=BB24_10 Depth=3
	s_wait_alu 0xfffe
	s_or_b32 exec_lo, exec_lo, s1
.LBB24_20:                              ;   in Loop: Header=BB24_10 Depth=3
	s_delay_alu instid0(SALU_CYCLE_1)
	s_or_b32 exec_lo, exec_lo, s40
	v_dual_mov_b32 v10, 0 :: v_dual_add_nc_u32 v13, s39, v15
	s_wait_loadcnt 0x0
	ds_store_b64 v19, v[11:12]
	v_cmp_gt_i32_e64 s0, s29, v13
	s_and_b32 s0, s0, vcc_lo
	s_wait_alu 0xfffe
	s_and_saveexec_b32 s1, s0
	s_cbranch_execz .LBB24_22
; %bb.21:                               ;   in Loop: Header=BB24_10 Depth=3
	v_ashrrev_i32_e32 v14, 31, v13
	s_delay_alu instid0(VALU_DEP_1) | instskip(NEXT) | instid1(VALU_DEP_1)
	v_lshlrev_b64_e32 v[9:10], 3, v[13:14]
	v_add_co_u32 v9, s0, v32, v9
	s_wait_alu 0xf1ff
	s_delay_alu instid0(VALU_DEP_2)
	v_add_co_ci_u32_e64 v10, null, v33, v10, s0
	global_load_b64 v[9:10], v[9:10], off
.LBB24_22:                              ;   in Loop: Header=BB24_10 Depth=3
	s_wait_alu 0xfffe
	s_or_b32 exec_lo, exec_lo, s1
	s_wait_loadcnt 0x0
	ds_store_b64 v20, v[9:10]
	s_wait_dscnt 0x0
	s_barrier_signal -1
	s_barrier_wait -1
	global_inv scope:SCOPE_SE
	s_and_saveexec_b32 s0, s38
	s_cbranch_execz .LBB24_9
; %bb.23:                               ;   in Loop: Header=BB24_10 Depth=3
	global_load_b64 v[9:10], v[7:8], off
	ds_load_2addr_b64 v[11:14], v18 offset1:32
	ds_load_b128 v[34:37], v17
	ds_load_b128 v[38:41], v17 offset:16
	ds_load_b128 v[42:45], v17 offset:32
	ds_load_b128 v[46:49], v17 offset:48
	ds_load_2addr_b64 v[50:53], v18 offset0:64 offset1:96
	ds_load_2addr_b64 v[54:57], v18 offset0:128 offset1:160
	;; [unrolled: 1-line block ×3, first 2 shown]
	ds_load_2addr_b64 v[62:65], v23 offset1:32
	ds_load_b128 v[66:69], v17 offset:64
	ds_load_b128 v[70:73], v17 offset:80
	ds_load_2addr_b64 v[74:77], v23 offset0:64 offset1:96
	ds_load_2addr_b64 v[78:81], v23 offset0:128 offset1:160
	ds_load_b128 v[82:85], v17 offset:96
	ds_load_b128 v[86:89], v17 offset:112
	ds_load_2addr_b64 v[90:93], v23 offset0:192 offset1:224
	ds_load_2addr_b64 v[94:97], v24 offset1:32
	ds_load_b128 v[98:101], v17 offset:128
	ds_load_b128 v[102:105], v17 offset:144
	ds_load_2addr_b64 v[106:109], v24 offset0:64 offset1:96
	ds_load_2addr_b64 v[110:113], v24 offset0:128 offset1:160
	ds_load_b128 v[114:117], v17 offset:160
	ds_load_b128 v[118:121], v17 offset:176
	ds_load_2addr_b64 v[122:125], v24 offset0:192 offset1:224
	ds_load_2addr_b64 v[126:129], v25 offset1:32
	s_wait_dscnt 0x17
	v_dual_mul_f32 v131, v11, v35 :: v_dual_mul_f32 v132, v13, v37
	v_dual_mul_f32 v130, v12, v35 :: v_dual_mul_f32 v35, v14, v37
	s_wait_dscnt 0x13
	v_mul_f32_e32 v37, v51, v39
	s_wait_dscnt 0x12
	v_dual_fmac_f32 v131, v12, v34 :: v_dual_mul_f32 v136, v54, v43
	v_mul_f32_e32 v133, v50, v39
	v_mul_f32_e32 v39, v53, v41
	s_wait_dscnt 0x11
	v_dual_mul_f32 v135, v52, v41 :: v_dual_mul_f32 v142, v58, v47
	v_mul_f32_e32 v41, v55, v43
	v_dual_mul_f32 v43, v57, v45 :: v_dual_fmac_f32 v132, v14, v36
	v_fma_f32 v138, v50, v38, -v37
	s_delay_alu instid0(VALU_DEP_4) | instskip(NEXT) | instid1(VALU_DEP_3)
	v_dual_fmac_f32 v142, v59, v46 :: v_dual_mul_f32 v137, v56, v45
	v_fma_f32 v141, v56, v44, -v43
	v_mul_f32_e32 v43, v61, v49
	v_fma_f32 v140, v54, v42, -v41
	v_fmac_f32_e32 v136, v55, v42
	v_dual_mul_f32 v42, v59, v47 :: v_dual_mul_f32 v143, v60, v49
	s_wait_dscnt 0xf
	v_mul_f32_e32 v47, v63, v67
	v_fma_f32 v59, v60, v48, -v43
	v_mul_f32_e32 v60, v62, v67
	v_fma_f32 v130, v11, v34, -v130
	v_fma_f32 v139, v52, v40, -v39
	v_fmac_f32_e32 v135, v53, v40
	v_fma_f32 v58, v58, v46, -v42
	v_mul_f32_e32 v46, v65, v69
	v_fma_f32 v62, v62, v66, -v47
	v_fmac_f32_e32 v60, v63, v66
	s_wait_dscnt 0xd
	v_dual_mul_f32 v66, v75, v71 :: v_dual_fmac_f32 v143, v61, v48
	v_mul_f32_e32 v61, v64, v69
	v_mul_f32_e32 v67, v74, v71
	v_fma_f32 v134, v13, v36, -v35
	v_add_f32_e32 v47, 0, v130
	v_fma_f32 v63, v64, v68, -v46
	v_mul_f32_e32 v69, v76, v73
	v_fma_f32 v66, v74, v70, -v66
	s_wait_dscnt 0xb
	v_dual_fmac_f32 v67, v75, v70 :: v_dual_mul_f32 v70, v78, v83
	s_wait_dscnt 0x9
	v_dual_fmac_f32 v61, v65, v68 :: v_dual_mul_f32 v74, v91, v87
	v_mul_f32_e32 v68, v77, v73
	v_fmac_f32_e32 v69, v77, v72
	v_dual_fmac_f32 v133, v51, v38 :: v_dual_add_f32 v48, 0, v131
	ds_load_b128 v[11:14], v17 offset:192
	ds_load_b128 v[34:37], v17 offset:208
	v_fma_f32 v68, v76, v72, -v68
	v_mul_f32_e32 v72, v81, v85
	v_dual_fmac_f32 v137, v57, v44 :: v_dual_add_f32 v64, v47, v134
	v_dual_add_f32 v65, v48, v132 :: v_dual_mul_f32 v76, v93, v89
	ds_load_2addr_b64 v[38:41], v25 offset0:64 offset1:96
	ds_load_2addr_b64 v[42:45], v25 offset0:128 offset1:160
	v_add_f32_e32 v64, v64, v138
	ds_load_b128 v[46:49], v17 offset:224
	ds_load_b128 v[50:53], v17 offset:240
	ds_load_2addr_b64 v[54:57], v25 offset0:192 offset1:224
	v_fmac_f32_e32 v70, v79, v82
	v_dual_add_f32 v64, v64, v139 :: v_dual_add_f32 v65, v65, v133
	s_delay_alu instid0(VALU_DEP_1) | instskip(NEXT) | instid1(VALU_DEP_1)
	v_add_f32_e32 v64, v64, v140
	v_dual_add_f32 v64, v64, v141 :: v_dual_add_f32 v65, v65, v135
	s_delay_alu instid0(VALU_DEP_1) | instskip(SKIP_2) | instid1(VALU_DEP_2)
	v_dual_add_f32 v58, v64, v58 :: v_dual_add_f32 v65, v65, v136
	s_wait_dscnt 0xe
	v_mul_f32_e32 v64, v94, v99
	v_add_f32_e32 v58, v58, v59
	s_wait_dscnt 0xc
	v_mul_f32_e32 v59, v107, v103
	s_delay_alu instid0(VALU_DEP_3) | instskip(NEXT) | instid1(VALU_DEP_3)
	v_fmac_f32_e32 v64, v95, v98
	v_add_f32_e32 v58, v58, v62
	v_mul_f32_e32 v62, v108, v105
	v_add_f32_e32 v65, v65, v137
	v_mul_f32_e32 v73, v80, v85
	s_delay_alu instid0(VALU_DEP_4) | instskip(SKIP_1) | instid1(VALU_DEP_4)
	v_dual_mul_f32 v85, v97, v101 :: v_dual_add_f32 v58, v58, v63
	v_mul_f32_e32 v77, v92, v89
	v_add_f32_e32 v65, v65, v142
	v_fmac_f32_e32 v62, v109, v104
	s_delay_alu instid0(VALU_DEP_4)
	v_add_f32_e32 v58, v58, v66
	s_wait_dscnt 0x8
	v_mul_f32_e32 v66, v122, v119
	v_add_f32_e32 v65, v65, v143
	v_mul_f32_e32 v71, v79, v83
	v_fmac_f32_e32 v77, v93, v88
	v_add_f32_e32 v58, v58, v68
	v_mul_f32_e32 v68, v125, v121
	v_dual_add_f32 v60, v65, v60 :: v_dual_mul_f32 v75, v90, v87
	v_mul_f32_e32 v87, v96, v101
	v_mul_f32_e32 v101, v110, v115
	v_fma_f32 v59, v106, v102, -v59
	s_delay_alu instid0(VALU_DEP_4) | instskip(NEXT) | instid1(VALU_DEP_4)
	v_dual_add_f32 v60, v60, v61 :: v_dual_fmac_f32 v75, v91, v86
	v_fmac_f32_e32 v87, v97, v100
	s_delay_alu instid0(VALU_DEP_2)
	v_dual_fmac_f32 v101, v111, v114 :: v_dual_add_f32 v60, v60, v67
	v_fma_f32 v67, v78, v82, -v71
	v_mul_f32_e32 v83, v95, v99
	v_mul_f32_e32 v99, v109, v105
	v_fma_f32 v71, v92, v88, -v76
	v_add_f32_e32 v60, v60, v69
	v_fma_f32 v69, v80, v84, -v72
	v_add_f32_e32 v58, v58, v67
	v_mul_f32_e32 v65, v111, v115
	v_fma_f32 v72, v96, v100, -v85
	v_add_f32_e32 v60, v60, v70
	v_fma_f32 v70, v90, v86, -v74
	v_add_f32_e32 v58, v58, v69
	s_delay_alu instid0(VALU_DEP_1) | instskip(SKIP_2) | instid1(VALU_DEP_3)
	v_dual_mul_f32 v63, v112, v117 :: v_dual_add_f32 v58, v58, v70
	v_mul_f32_e32 v67, v124, v121
	v_fma_f32 v70, v94, v98, -v83
	v_dual_fmac_f32 v63, v113, v116 :: v_dual_add_f32 v58, v58, v71
	s_wait_dscnt 0x6
	v_mul_f32_e32 v71, v129, v14
	v_dual_mul_f32 v14, v128, v14 :: v_dual_fmac_f32 v73, v81, v84
	v_mul_f32_e32 v89, v106, v103
	v_dual_mul_f32 v69, v127, v12 :: v_dual_add_f32 v58, v58, v70
	v_fma_f32 v70, v108, v104, -v99
	s_delay_alu instid0(VALU_DEP_4) | instskip(SKIP_1) | instid1(VALU_DEP_4)
	v_add_f32_e32 v60, v60, v73
	v_mul_f32_e32 v61, v113, v117
	v_dual_fmac_f32 v89, v107, v102 :: v_dual_add_f32 v58, v58, v72
	v_dual_mul_f32 v103, v123, v119 :: v_dual_mul_f32 v12, v126, v12
	s_delay_alu instid0(VALU_DEP_4) | instskip(NEXT) | instid1(VALU_DEP_4)
	v_add_f32_e32 v60, v60, v75
	v_fma_f32 v61, v112, v116, -v61
	s_delay_alu instid0(VALU_DEP_4)
	v_add_f32_e32 v58, v58, v59
	v_fma_f32 v59, v110, v114, -v65
	v_fmac_f32_e32 v12, v127, v11
	v_add_f32_e32 v60, v60, v77
	v_fmac_f32_e32 v14, v129, v13
	v_dual_add_f32 v58, v58, v70 :: v_dual_fmac_f32 v67, v125, v120
	v_fmac_f32_e32 v66, v123, v118
	s_delay_alu instid0(VALU_DEP_4) | instskip(SKIP_3) | instid1(VALU_DEP_3)
	v_add_f32_e32 v60, v60, v64
	s_wait_dscnt 0x4
	v_mul_f32_e32 v64, v39, v35
	v_mul_f32_e32 v35, v38, v35
	v_add_f32_e32 v60, v60, v87
	s_delay_alu instid0(VALU_DEP_3) | instskip(NEXT) | instid1(VALU_DEP_2)
	v_fma_f32 v38, v38, v34, -v64
	v_dual_fmac_f32 v35, v39, v34 :: v_dual_add_f32 v60, v60, v89
	s_delay_alu instid0(VALU_DEP_1) | instskip(SKIP_3) | instid1(VALU_DEP_2)
	v_add_f32_e32 v60, v60, v62
	v_mul_f32_e32 v62, v41, v37
	v_dual_mul_f32 v37, v40, v37 :: v_dual_add_f32 v58, v58, v59
	v_fma_f32 v59, v122, v118, -v103
	v_dual_fmac_f32 v37, v41, v36 :: v_dual_add_f32 v58, v58, v61
	s_wait_dscnt 0x2
	v_dual_mul_f32 v61, v43, v47 :: v_dual_add_f32 v60, v60, v101
	v_mul_f32_e32 v47, v42, v47
	v_fma_f32 v34, v40, v36, -v62
	v_add_f32_e32 v58, v58, v59
	v_fma_f32 v59, v126, v11, -v69
	v_add_f32_e32 v60, v60, v63
	v_fma_f32 v63, v124, v120, -v68
	v_fmac_f32_e32 v47, v43, v46
	v_fma_f32 v36, v42, v46, -v61
	s_delay_alu instid0(VALU_DEP_4) | instskip(NEXT) | instid1(VALU_DEP_4)
	v_add_f32_e32 v60, v60, v66
	v_add_f32_e32 v58, v58, v63
	v_fma_f32 v63, v128, v13, -v71
	v_mul_f32_e32 v13, v44, v49
	s_delay_alu instid0(VALU_DEP_4) | instskip(NEXT) | instid1(VALU_DEP_2)
	v_add_f32_e32 v11, v60, v67
	v_fmac_f32_e32 v13, v45, v48
	s_delay_alu instid0(VALU_DEP_2) | instskip(NEXT) | instid1(VALU_DEP_1)
	v_add_f32_e32 v11, v11, v12
	v_dual_add_f32 v11, v11, v14 :: v_dual_mul_f32 v60, v45, v49
	s_wait_dscnt 0x0
	v_mul_f32_e32 v14, v55, v51
	s_delay_alu instid0(VALU_DEP_2) | instskip(SKIP_2) | instid1(VALU_DEP_4)
	v_add_f32_e32 v11, v11, v35
	v_add_f32_e32 v12, v58, v59
	v_mul_f32_e32 v35, v54, v51
	v_fma_f32 v14, v54, v50, -v14
	s_delay_alu instid0(VALU_DEP_3) | instskip(NEXT) | instid1(VALU_DEP_3)
	v_dual_add_f32 v11, v11, v37 :: v_dual_add_f32 v12, v12, v63
	v_fmac_f32_e32 v35, v55, v50
	v_fma_f32 v37, v44, v48, -v60
	s_delay_alu instid0(VALU_DEP_3) | instskip(NEXT) | instid1(VALU_DEP_1)
	v_dual_add_f32 v11, v11, v47 :: v_dual_add_f32 v12, v12, v38
	v_dual_add_f32 v11, v11, v13 :: v_dual_add_f32 v12, v12, v34
	s_delay_alu instid0(VALU_DEP_1) | instskip(NEXT) | instid1(VALU_DEP_2)
	v_dual_mul_f32 v34, v57, v53 :: v_dual_add_f32 v11, v11, v35
	v_add_f32_e32 v12, v12, v36
	v_mul_f32_e32 v36, v56, v53
	s_delay_alu instid0(VALU_DEP_3) | instskip(NEXT) | instid1(VALU_DEP_2)
	v_fma_f32 v13, v56, v52, -v34
	v_fmac_f32_e32 v36, v57, v52
	s_delay_alu instid0(VALU_DEP_1) | instskip(NEXT) | instid1(VALU_DEP_1)
	v_dual_add_f32 v12, v12, v37 :: v_dual_add_f32 v11, v11, v36
	v_add_f32_e32 v12, v12, v14
	s_delay_alu instid0(VALU_DEP_1) | instskip(NEXT) | instid1(VALU_DEP_1)
	v_dual_add_f32 v12, v12, v13 :: v_dual_mul_f32 v13, s5, v11
	v_mul_f32_e32 v14, s5, v12
	s_delay_alu instid0(VALU_DEP_2) | instskip(SKIP_1) | instid1(VALU_DEP_1)
	v_fma_f32 v12, s4, v12, -v13
	s_wait_loadcnt 0x0
	v_dual_fmac_f32 v14, s4, v11 :: v_dual_add_f32 v9, v9, v12
	s_delay_alu instid0(VALU_DEP_1)
	v_add_f32_e32 v10, v10, v14
	global_store_b64 v[7:8], v[9:10], off
	s_branch .LBB24_9
.LBB24_24:
	s_endpgm
	.section	.rodata,"a",@progbits
	.p2align	6, 0x0
	.amdhsa_kernel _ZL24rocblas_symm_hemm_kernelILb1ELb0ELi32EPK19rocblas_complex_numIfES3_PS1_EvbiiT2_T3_lllS6_lllT4_llli
		.amdhsa_group_segment_fixed_size 16384
		.amdhsa_private_segment_fixed_size 0
		.amdhsa_kernarg_size 384
		.amdhsa_user_sgpr_count 2
		.amdhsa_user_sgpr_dispatch_ptr 0
		.amdhsa_user_sgpr_queue_ptr 0
		.amdhsa_user_sgpr_kernarg_segment_ptr 1
		.amdhsa_user_sgpr_dispatch_id 0
		.amdhsa_user_sgpr_private_segment_size 0
		.amdhsa_wavefront_size32 1
		.amdhsa_uses_dynamic_stack 0
		.amdhsa_enable_private_segment 0
		.amdhsa_system_sgpr_workgroup_id_x 1
		.amdhsa_system_sgpr_workgroup_id_y 1
		.amdhsa_system_sgpr_workgroup_id_z 1
		.amdhsa_system_sgpr_workgroup_info 0
		.amdhsa_system_vgpr_workitem_id 1
		.amdhsa_next_free_vgpr 144
		.amdhsa_next_free_sgpr 42
		.amdhsa_reserve_vcc 1
		.amdhsa_float_round_mode_32 0
		.amdhsa_float_round_mode_16_64 0
		.amdhsa_float_denorm_mode_32 3
		.amdhsa_float_denorm_mode_16_64 3
		.amdhsa_fp16_overflow 0
		.amdhsa_workgroup_processor_mode 1
		.amdhsa_memory_ordered 1
		.amdhsa_forward_progress 1
		.amdhsa_inst_pref_size 21
		.amdhsa_round_robin_scheduling 0
		.amdhsa_exception_fp_ieee_invalid_op 0
		.amdhsa_exception_fp_denorm_src 0
		.amdhsa_exception_fp_ieee_div_zero 0
		.amdhsa_exception_fp_ieee_overflow 0
		.amdhsa_exception_fp_ieee_underflow 0
		.amdhsa_exception_fp_ieee_inexact 0
		.amdhsa_exception_int_div_zero 0
	.end_amdhsa_kernel
	.section	.text._ZL24rocblas_symm_hemm_kernelILb1ELb0ELi32EPK19rocblas_complex_numIfES3_PS1_EvbiiT2_T3_lllS6_lllT4_llli,"axG",@progbits,_ZL24rocblas_symm_hemm_kernelILb1ELb0ELi32EPK19rocblas_complex_numIfES3_PS1_EvbiiT2_T3_lllS6_lllT4_llli,comdat
.Lfunc_end24:
	.size	_ZL24rocblas_symm_hemm_kernelILb1ELb0ELi32EPK19rocblas_complex_numIfES3_PS1_EvbiiT2_T3_lllS6_lllT4_llli, .Lfunc_end24-_ZL24rocblas_symm_hemm_kernelILb1ELb0ELi32EPK19rocblas_complex_numIfES3_PS1_EvbiiT2_T3_lllS6_lllT4_llli
                                        ; -- End function
	.set _ZL24rocblas_symm_hemm_kernelILb1ELb0ELi32EPK19rocblas_complex_numIfES3_PS1_EvbiiT2_T3_lllS6_lllT4_llli.num_vgpr, 144
	.set _ZL24rocblas_symm_hemm_kernelILb1ELb0ELi32EPK19rocblas_complex_numIfES3_PS1_EvbiiT2_T3_lllS6_lllT4_llli.num_agpr, 0
	.set _ZL24rocblas_symm_hemm_kernelILb1ELb0ELi32EPK19rocblas_complex_numIfES3_PS1_EvbiiT2_T3_lllS6_lllT4_llli.numbered_sgpr, 42
	.set _ZL24rocblas_symm_hemm_kernelILb1ELb0ELi32EPK19rocblas_complex_numIfES3_PS1_EvbiiT2_T3_lllS6_lllT4_llli.num_named_barrier, 0
	.set _ZL24rocblas_symm_hemm_kernelILb1ELb0ELi32EPK19rocblas_complex_numIfES3_PS1_EvbiiT2_T3_lllS6_lllT4_llli.private_seg_size, 0
	.set _ZL24rocblas_symm_hemm_kernelILb1ELb0ELi32EPK19rocblas_complex_numIfES3_PS1_EvbiiT2_T3_lllS6_lllT4_llli.uses_vcc, 1
	.set _ZL24rocblas_symm_hemm_kernelILb1ELb0ELi32EPK19rocblas_complex_numIfES3_PS1_EvbiiT2_T3_lllS6_lllT4_llli.uses_flat_scratch, 0
	.set _ZL24rocblas_symm_hemm_kernelILb1ELb0ELi32EPK19rocblas_complex_numIfES3_PS1_EvbiiT2_T3_lllS6_lllT4_llli.has_dyn_sized_stack, 0
	.set _ZL24rocblas_symm_hemm_kernelILb1ELb0ELi32EPK19rocblas_complex_numIfES3_PS1_EvbiiT2_T3_lllS6_lllT4_llli.has_recursion, 0
	.set _ZL24rocblas_symm_hemm_kernelILb1ELb0ELi32EPK19rocblas_complex_numIfES3_PS1_EvbiiT2_T3_lllS6_lllT4_llli.has_indirect_call, 0
	.section	.AMDGPU.csdata,"",@progbits
; Kernel info:
; codeLenInByte = 2644
; TotalNumSgprs: 44
; NumVgprs: 144
; ScratchSize: 0
; MemoryBound: 0
; FloatMode: 240
; IeeeMode: 1
; LDSByteSize: 16384 bytes/workgroup (compile time only)
; SGPRBlocks: 0
; VGPRBlocks: 17
; NumSGPRsForWavesPerEU: 44
; NumVGPRsForWavesPerEU: 144
; Occupancy: 10
; WaveLimiterHint : 1
; COMPUTE_PGM_RSRC2:SCRATCH_EN: 0
; COMPUTE_PGM_RSRC2:USER_SGPR: 2
; COMPUTE_PGM_RSRC2:TRAP_HANDLER: 0
; COMPUTE_PGM_RSRC2:TGID_X_EN: 1
; COMPUTE_PGM_RSRC2:TGID_Y_EN: 1
; COMPUTE_PGM_RSRC2:TGID_Z_EN: 1
; COMPUTE_PGM_RSRC2:TIDIG_COMP_CNT: 1
	.section	.text._ZL24rocblas_symm_hemm_kernelILb1ELb1ELi32EPK19rocblas_complex_numIfES3_PS1_EvbiiT2_T3_lllS6_lllT4_llli,"axG",@progbits,_ZL24rocblas_symm_hemm_kernelILb1ELb1ELi32EPK19rocblas_complex_numIfES3_PS1_EvbiiT2_T3_lllS6_lllT4_llli,comdat
	.globl	_ZL24rocblas_symm_hemm_kernelILb1ELb1ELi32EPK19rocblas_complex_numIfES3_PS1_EvbiiT2_T3_lllS6_lllT4_llli ; -- Begin function _ZL24rocblas_symm_hemm_kernelILb1ELb1ELi32EPK19rocblas_complex_numIfES3_PS1_EvbiiT2_T3_lllS6_lllT4_llli
	.p2align	8
	.type	_ZL24rocblas_symm_hemm_kernelILb1ELb1ELi32EPK19rocblas_complex_numIfES3_PS1_EvbiiT2_T3_lllS6_lllT4_llli,@function
_ZL24rocblas_symm_hemm_kernelILb1ELb1ELi32EPK19rocblas_complex_numIfES3_PS1_EvbiiT2_T3_lllS6_lllT4_llli: ; @_ZL24rocblas_symm_hemm_kernelILb1ELb1ELi32EPK19rocblas_complex_numIfES3_PS1_EvbiiT2_T3_lllS6_lllT4_llli
; %bb.0:
	s_load_b512 s[4:19], s[0:1], 0x10
	s_wait_kmcnt 0x0
	s_load_b64 s[4:5], s[4:5], 0x0
	s_wait_kmcnt 0x0
	s_cmp_eq_f32 s4, 0
	s_cselect_b32 s2, -1, 0
	s_cmp_eq_f32 s5, 0
	s_cselect_b32 s3, -1, 0
	s_delay_alu instid0(SALU_CYCLE_1) | instskip(NEXT) | instid1(SALU_CYCLE_1)
	s_and_b32 s2, s2, s3
	s_and_b32 vcc_lo, exec_lo, s2
	s_cbranch_vccnz .LBB25_24
; %bb.1:
	s_load_b32 s31, s[0:1], 0x78
	s_lshr_b32 s34, ttmp7, 16
	s_wait_kmcnt 0x0
	s_cmp_ge_u32 s34, s31
	s_cbranch_scc1 .LBB25_24
; %bb.2:
	s_clause 0x1
	s_load_b96 s[28:30], s[0:1], 0x0
	s_load_b256 s[20:27], s[0:1], 0x50
	v_and_b32_e32 v10, 0x3ff, v0
	v_bfe_u32 v11, v0, 10, 10
	s_lshl_b64 s[36:37], s[8:9], 3
	s_load_b64 s[8:9], s[0:1], 0x70
	s_add_nc_u64 s[6:7], s[6:7], s[36:37]
	v_lshl_add_u32 v0, ttmp9, 5, v10
	v_lshlrev_b32_e32 v2, 3, v11
	v_lshlrev_b32_e32 v12, 8, v10
	s_mov_b32 s35, 0
	s_delay_alu instid0(VALU_DEP_3) | instskip(NEXT) | instid1(VALU_DEP_3)
	v_ashrrev_i32_e32 v1, 31, v0
	v_or_b32_e32 v13, 0x2000, v2
	s_delay_alu instid0(VALU_DEP_3) | instskip(NEXT) | instid1(VALU_DEP_3)
	v_add_nc_u32_e32 v14, v12, v2
	v_lshlrev_b64_e32 v[1:2], 3, v[0:1]
	s_delay_alu instid0(VALU_DEP_3)
	v_add_nc_u32_e32 v15, v13, v12
	v_add_nc_u32_e32 v21, 0x800, v13
	s_wait_kmcnt 0x0
	s_bitcmp1_b32 s28, 0
	v_cmp_gt_i32_e64 s2, s29, v0
	s_cselect_b32 s3, -1, 0
	s_add_co_i32 s33, s30, -1
	s_lshl_b64 s[28:29], s[24:25], 3
	s_ashr_i32 s25, s33, 31
	s_lshl_b64 s[16:17], s[16:17], 3
	s_and_b32 s24, ttmp7, 0xffff
	s_lshr_b32 s25, s25, 27
	s_add_nc_u64 s[14:15], s[14:15], s[16:17]
	s_add_co_i32 s33, s33, s25
	v_lshl_add_u32 v0, s24, 5, v11
	s_wait_alu 0xfffe
	s_add_nc_u64 s[16:17], s[22:23], s[28:29]
	v_add_co_u32 v16, vcc_lo, s14, v1
	s_ashr_i32 s22, s33, 5
	v_add_co_ci_u32_e64 v17, null, s15, v2, vcc_lo
	v_add_co_u32 v18, vcc_lo, s16, v1
	s_cmp_le_i32 s24, s22
	s_wait_alu 0xfffd
	v_add_co_ci_u32_e64 v19, null, s17, v2, vcc_lo
	v_sub_nc_u32_e32 v20, 0, v0
	v_add_nc_u32_e32 v22, 0x1000, v13
	v_add_nc_u32_e32 v23, 0x1800, v13
	s_cselect_b32 s23, -1, 0
	s_cmp_gt_i32 s30, 0
	s_add_nc_u64 s[14:15], s[0:1], 0x80
	s_cselect_b32 s25, -1, 0
	s_branch .LBB25_4
.LBB25_3:                               ;   in Loop: Header=BB25_4 Depth=1
	s_add_co_i32 s34, s34, 0x10000
	s_delay_alu instid0(SALU_CYCLE_1)
	s_cmp_lt_u32 s34, s31
	s_cbranch_scc0 .LBB25_24
.LBB25_4:                               ; =>This Loop Header: Depth=1
                                        ;     Child Loop BB25_7 Depth 2
                                        ;       Child Loop BB25_10 Depth 3
	s_and_not1_b32 vcc_lo, exec_lo, s23
	s_wait_alu 0xfffe
	s_cbranch_vccnz .LBB25_3
; %bb.5:                                ;   in Loop: Header=BB25_4 Depth=1
	s_load_b32 s1, s[14:15], 0x4
	s_mul_u64 s[36:37], s[20:21], s[34:35]
	s_mul_u64 s[28:29], s[8:9], s[34:35]
	s_wait_alu 0xfffe
	s_lshl_b64 s[36:37], s[36:37], 3
	s_lshl_b64 s[28:29], s[28:29], 3
	s_wait_alu 0xfffe
	v_add_co_u32 v25, vcc_lo, v16, s36
	s_wait_alu 0xfffd
	v_add_co_ci_u32_e64 v26, null, s37, v17, vcc_lo
	v_add_co_u32 v27, vcc_lo, v18, s28
	s_mul_u64 s[16:17], s[12:13], s[34:35]
	v_mov_b32_e32 v24, v20
	s_wait_alu 0xfffd
	v_add_co_ci_u32_e64 v28, null, s29, v19, vcc_lo
	s_wait_alu 0xfffe
	s_lshl_b64 s[16:17], s[16:17], 3
	s_mov_b32 s29, s24
	s_wait_alu 0xfffe
	s_add_nc_u64 s[16:17], s[6:7], s[16:17]
	s_wait_kmcnt 0x0
	s_lshl_b32 s28, s1, 5
	s_branch .LBB25_7
.LBB25_6:                               ;   in Loop: Header=BB25_7 Depth=2
	v_subrev_nc_u32_e32 v24, s28, v24
	s_add_co_i32 s29, s29, s1
	s_wait_alu 0xfffe
	s_cmp_gt_i32 s29, s22
	s_cbranch_scc1 .LBB25_3
.LBB25_7:                               ;   Parent Loop BB25_4 Depth=1
                                        ; =>  This Loop Header: Depth=2
                                        ;       Child Loop BB25_10 Depth 3
	s_and_not1_b32 vcc_lo, exec_lo, s25
	s_wait_alu 0xfffe
	s_cbranch_vccnz .LBB25_6
; %bb.8:                                ;   in Loop: Header=BB25_7 Depth=2
	v_lshl_add_u32 v0, s29, 5, v11
	v_add_nc_u32_e32 v33, v10, v24
	s_mov_b32 s36, 0
	s_delay_alu instid0(VALU_DEP_2) | instskip(SKIP_3) | instid1(VALU_DEP_4)
	v_ashrrev_i32_e32 v1, 31, v0
	v_mul_lo_u32 v6, s11, v0
	v_mad_co_u64_u32 v[2:3], null, s10, v0, 0
	v_mul_lo_u32 v8, s27, v0
	v_mul_lo_u32 v7, s10, v1
	v_mad_co_u64_u32 v[4:5], null, s26, v0, 0
	v_mul_lo_u32 v9, s26, v1
	v_cmp_gt_i32_e32 vcc_lo, s30, v0
	s_delay_alu instid0(VALU_DEP_4) | instskip(SKIP_2) | instid1(VALU_DEP_4)
	v_add3_u32 v3, v3, v7, v6
	v_lshlrev_b64_e32 v[6:7], 3, v[0:1]
	s_and_b32 s33, s2, vcc_lo
	v_add3_u32 v5, v5, v9, v8
	s_delay_alu instid0(VALU_DEP_3) | instskip(NEXT) | instid1(VALU_DEP_3)
	v_lshlrev_b64_e32 v[1:2], 3, v[2:3]
	v_add_co_u32 v29, s0, s16, v6
	s_delay_alu instid0(VALU_DEP_3) | instskip(SKIP_2) | instid1(VALU_DEP_4)
	v_lshlrev_b64_e32 v[3:4], 3, v[4:5]
	s_wait_alu 0xf1ff
	v_add_co_ci_u32_e64 v30, null, s17, v7, s0
	v_add_co_u32 v31, s0, s16, v1
	s_wait_alu 0xf1ff
	v_add_co_ci_u32_e64 v32, null, s17, v2, s0
	v_add_co_u32 v1, s0, v27, v3
	;; [unrolled: 3-line block ×3, first 2 shown]
	s_wait_alu 0xf1ff
	v_add_co_ci_u32_e64 v4, null, v32, v7, s0
	s_branch .LBB25_10
.LBB25_9:                               ;   in Loop: Header=BB25_10 Depth=3
	s_wait_alu 0xfffe
	s_or_b32 exec_lo, exec_lo, s0
	s_add_co_i32 s36, s36, 32
	s_wait_loadcnt 0x0
	s_wait_storecnt 0x0
	s_wait_alu 0xfffe
	s_cmp_ge_i32 s36, s30
	s_barrier_signal -1
	s_barrier_wait -1
	global_inv scope:SCOPE_SE
	s_cbranch_scc1 .LBB25_6
.LBB25_10:                              ;   Parent Loop BB25_4 Depth=1
                                        ;     Parent Loop BB25_7 Depth=2
                                        ; =>    This Inner Loop Header: Depth=3
	s_wait_alu 0xfffe
	v_dual_mov_b32 v5, 0 :: v_dual_add_nc_u32 v6, s36, v11
	v_dual_mov_b32 v8, 0 :: v_dual_mov_b32 v9, 0
	s_delay_alu instid0(VALU_DEP_2)
	v_cmp_gt_i32_e32 vcc_lo, s30, v6
	s_and_b32 s37, s2, vcc_lo
	s_wait_alu 0xfffe
	s_and_saveexec_b32 s0, s37
	s_cbranch_execz .LBB25_12
; %bb.11:                               ;   in Loop: Header=BB25_10 Depth=3
	v_ashrrev_i32_e32 v8, 31, v6
	v_mul_lo_u32 v9, s19, v6
	v_mad_co_u64_u32 v[6:7], null, s18, v6, 0
	s_delay_alu instid0(VALU_DEP_3) | instskip(NEXT) | instid1(VALU_DEP_1)
	v_mul_lo_u32 v8, s18, v8
	v_add3_u32 v7, v7, v8, v9
	s_delay_alu instid0(VALU_DEP_1) | instskip(NEXT) | instid1(VALU_DEP_1)
	v_lshlrev_b64_e32 v[6:7], 3, v[6:7]
	v_add_co_u32 v6, vcc_lo, v25, v6
	s_wait_alu 0xfffd
	s_delay_alu instid0(VALU_DEP_2)
	v_add_co_ci_u32_e64 v7, null, v26, v7, vcc_lo
	global_load_b64 v[8:9], v[6:7], off
.LBB25_12:                              ;   in Loop: Header=BB25_10 Depth=3
	s_wait_alu 0xfffe
	s_or_b32 exec_lo, exec_lo, s0
	v_add_nc_u32_e32 v7, s36, v10
	s_mov_b32 s37, exec_lo
	s_wait_loadcnt 0x0
	ds_store_b64 v14, v[8:9]
	v_cndmask_b32_e64 v6, v0, v7, s3
	v_cndmask_b32_e64 v34, v7, v0, s3
	s_delay_alu instid0(VALU_DEP_1) | instskip(SKIP_4) | instid1(VALU_DEP_3)
	v_cmp_gt_i32_e32 vcc_lo, v6, v34
	s_wait_alu 0xfffd
	v_dual_cndmask_b32 v35, v7, v0 :: v_dual_cndmask_b32 v36, v0, v7
	v_cmp_le_i32_e32 vcc_lo, v6, v34
	v_mov_b32_e32 v6, 0
	v_max_i32_e32 v35, v35, v36
	s_delay_alu instid0(VALU_DEP_1)
	v_cmpx_gt_i32_e64 s30, v35
	s_cbranch_execz .LBB25_22
; %bb.13:                               ;   in Loop: Header=BB25_10 Depth=3
                                        ; implicit-def: $vgpr6
	s_and_saveexec_b32 s0, vcc_lo
	s_wait_alu 0xfffe
	s_xor_b32 s0, exec_lo, s0
	s_cbranch_execz .LBB25_19
; %bb.14:                               ;   in Loop: Header=BB25_10 Depth=3
	v_add_nc_u32_e32 v5, s36, v33
	s_delay_alu instid0(VALU_DEP_1) | instskip(SKIP_1) | instid1(SALU_CYCLE_1)
	v_cmp_ne_u32_e32 vcc_lo, 0, v5
                                        ; implicit-def: $vgpr6
	s_and_saveexec_b32 s38, vcc_lo
	s_xor_b32 s38, exec_lo, s38
	s_cbranch_execz .LBB25_16
; %bb.15:                               ;   in Loop: Header=BB25_10 Depth=3
	v_ashrrev_i32_e32 v8, 31, v7
	s_delay_alu instid0(VALU_DEP_1) | instskip(NEXT) | instid1(VALU_DEP_1)
	v_lshlrev_b64_e32 v[5:6], 3, v[7:8]
	v_add_co_u32 v5, vcc_lo, v31, v5
	s_wait_alu 0xfffd
	s_delay_alu instid0(VALU_DEP_2)
	v_add_co_ci_u32_e64 v6, null, v32, v6, vcc_lo
	global_load_b64 v[5:6], v[5:6], off
.LBB25_16:                              ;   in Loop: Header=BB25_10 Depth=3
	s_and_not1_saveexec_b32 s38, s38
	s_cbranch_execz .LBB25_18
; %bb.17:                               ;   in Loop: Header=BB25_10 Depth=3
	s_wait_loadcnt 0x0
	global_load_b32 v5, v[3:4], off
	v_mov_b32_e32 v6, 0
.LBB25_18:                              ;   in Loop: Header=BB25_10 Depth=3
	s_or_b32 exec_lo, exec_lo, s38
                                        ; implicit-def: $vgpr7
.LBB25_19:                              ;   in Loop: Header=BB25_10 Depth=3
	s_wait_alu 0xfffe
	s_and_not1_saveexec_b32 s0, s0
	s_cbranch_execz .LBB25_21
; %bb.20:                               ;   in Loop: Header=BB25_10 Depth=3
	v_ashrrev_i32_e32 v8, 31, v7
	v_mul_lo_u32 v9, s11, v7
	s_wait_loadcnt 0x0
	v_mad_co_u64_u32 v[5:6], null, s10, v7, 0
	s_delay_alu instid0(VALU_DEP_3) | instskip(NEXT) | instid1(VALU_DEP_1)
	v_mul_lo_u32 v7, s10, v8
	v_add3_u32 v6, v6, v7, v9
	s_delay_alu instid0(VALU_DEP_1) | instskip(NEXT) | instid1(VALU_DEP_1)
	v_lshlrev_b64_e32 v[5:6], 3, v[5:6]
	v_add_co_u32 v5, vcc_lo, v29, v5
	s_wait_alu 0xfffd
	s_delay_alu instid0(VALU_DEP_2)
	v_add_co_ci_u32_e64 v6, null, v30, v6, vcc_lo
	global_load_b64 v[5:6], v[5:6], off
	s_wait_loadcnt 0x0
	v_xor_b32_e32 v6, 0x80000000, v6
.LBB25_21:                              ;   in Loop: Header=BB25_10 Depth=3
	s_wait_alu 0xfffe
	s_or_b32 exec_lo, exec_lo, s0
.LBB25_22:                              ;   in Loop: Header=BB25_10 Depth=3
	s_wait_alu 0xfffe
	s_or_b32 exec_lo, exec_lo, s37
	s_wait_loadcnt 0x0
	ds_store_b64 v15, v[5:6]
	s_wait_dscnt 0x0
	s_barrier_signal -1
	s_barrier_wait -1
	global_inv scope:SCOPE_SE
	s_and_saveexec_b32 s0, s33
	s_cbranch_execz .LBB25_9
; %bb.23:                               ;   in Loop: Header=BB25_10 Depth=3
	global_load_b64 v[5:6], v[1:2], off
	ds_load_2addr_b64 v[34:37], v13 offset1:32
	ds_load_b128 v[38:41], v12
	ds_load_b128 v[42:45], v12 offset:16
	ds_load_b128 v[46:49], v12 offset:32
	ds_load_b128 v[50:53], v12 offset:48
	ds_load_2addr_b64 v[54:57], v13 offset0:64 offset1:96
	ds_load_2addr_b64 v[58:61], v13 offset0:128 offset1:160
	;; [unrolled: 1-line block ×3, first 2 shown]
	ds_load_2addr_b64 v[66:69], v21 offset1:32
	ds_load_b128 v[70:73], v12 offset:64
	ds_load_b128 v[74:77], v12 offset:80
	ds_load_2addr_b64 v[78:81], v21 offset0:64 offset1:96
	ds_load_2addr_b64 v[82:85], v21 offset0:128 offset1:160
	ds_load_b128 v[86:89], v12 offset:96
	ds_load_b128 v[90:93], v12 offset:112
	ds_load_2addr_b64 v[94:97], v21 offset0:192 offset1:224
	ds_load_2addr_b64 v[98:101], v22 offset1:32
	ds_load_b128 v[102:105], v12 offset:128
	ds_load_b128 v[106:109], v12 offset:144
	ds_load_2addr_b64 v[110:113], v22 offset0:64 offset1:96
	ds_load_2addr_b64 v[114:117], v22 offset0:128 offset1:160
	ds_load_b128 v[118:121], v12 offset:160
	ds_load_b128 v[122:125], v12 offset:176
	ds_load_2addr_b64 v[126:129], v22 offset0:192 offset1:224
	ds_load_2addr_b64 v[130:133], v23 offset1:32
	s_wait_dscnt 0x17
	v_dual_mul_f32 v8, v34, v39 :: v_dual_mul_f32 v9, v37, v41
	v_dual_mul_f32 v7, v35, v39 :: v_dual_mul_f32 v134, v36, v41
	s_wait_dscnt 0x13
	s_delay_alu instid0(VALU_DEP_2) | instskip(SKIP_1) | instid1(VALU_DEP_3)
	v_dual_mul_f32 v135, v54, v43 :: v_dual_fmac_f32 v8, v35, v38
	v_mul_f32_e32 v39, v55, v43
	v_fma_f32 v7, v34, v38, -v7
	v_fmac_f32_e32 v134, v37, v40
	s_wait_dscnt 0x12
	v_dual_mul_f32 v136, v56, v45 :: v_dual_mul_f32 v43, v59, v47
	v_dual_mul_f32 v137, v58, v47 :: v_dual_mul_f32 v138, v60, v49
	s_wait_dscnt 0x11
	v_dual_mul_f32 v143, v62, v51 :: v_dual_mul_f32 v144, v64, v53
	v_dual_mul_f32 v47, v65, v53 :: v_dual_add_f32 v8, 0, v8
	v_mul_f32_e32 v41, v57, v45
	v_fma_f32 v9, v36, v40, -v9
	v_mul_f32_e32 v45, v61, v49
	v_dual_fmac_f32 v135, v55, v42 :: v_dual_fmac_f32 v136, v57, v44
	v_fma_f32 v141, v58, v46, -v43
	v_dual_fmac_f32 v137, v59, v46 :: v_dual_fmac_f32 v138, v61, v48
	v_mul_f32_e32 v46, v63, v51
	s_wait_dscnt 0xf
	v_dual_mul_f32 v51, v67, v71 :: v_dual_fmac_f32 v144, v65, v52
	v_fmac_f32_e32 v143, v63, v50
	v_fma_f32 v63, v64, v52, -v47
	v_dual_mul_f32 v64, v66, v71 :: v_dual_mul_f32 v65, v68, v73
	v_dual_add_f32 v7, 0, v7 :: v_dual_add_f32 v8, v8, v134
	v_fma_f32 v139, v54, v42, -v39
	v_fma_f32 v62, v62, v50, -v46
	v_mul_f32_e32 v50, v69, v73
	v_dual_fmac_f32 v64, v67, v70 :: v_dual_fmac_f32 v65, v69, v72
	v_dual_add_f32 v8, v8, v135 :: v_dual_add_f32 v7, v7, v9
	v_fma_f32 v140, v56, v44, -v41
	s_delay_alu instid0(VALU_DEP_4) | instskip(SKIP_1) | instid1(VALU_DEP_3)
	v_fma_f32 v67, v68, v72, -v50
	s_wait_dscnt 0xd
	v_dual_mul_f32 v9, v79, v75 :: v_dual_add_f32 v8, v8, v136
	v_mul_f32_e32 v68, v78, v75
	v_add_f32_e32 v7, v7, v139
	v_fma_f32 v66, v66, v70, -v51
	v_mul_f32_e32 v70, v80, v77
	s_wait_dscnt 0x9
	v_dual_add_f32 v8, v8, v137 :: v_dual_mul_f32 v75, v95, v91
	v_dual_add_f32 v7, v7, v140 :: v_dual_mul_f32 v72, v82, v87
	v_fma_f32 v142, v60, v48, -v45
	s_delay_alu instid0(VALU_DEP_3) | instskip(SKIP_1) | instid1(VALU_DEP_4)
	v_dual_add_f32 v8, v8, v138 :: v_dual_mul_f32 v69, v81, v77
	v_fmac_f32_e32 v68, v79, v74
	v_add_f32_e32 v7, v7, v141
	v_fma_f32 v9, v78, v74, -v9
	v_mul_f32_e32 v74, v84, v89
	v_dual_mul_f32 v77, v97, v93 :: v_dual_add_f32 v8, v8, v143
	s_delay_alu instid0(VALU_DEP_4) | instskip(SKIP_2) | instid1(VALU_DEP_3)
	v_add_f32_e32 v7, v7, v142
	v_dual_mul_f32 v71, v83, v87 :: v_dual_fmac_f32 v70, v81, v76
	v_fma_f32 v69, v80, v76, -v69
	v_dual_add_f32 v8, v8, v144 :: v_dual_add_f32 v7, v7, v62
	s_wait_dscnt 0x7
	v_mul_f32_e32 v62, v98, v103
	v_mul_f32_e32 v80, v101, v105
	v_dual_mul_f32 v73, v85, v89 :: v_dual_mul_f32 v76, v94, v91
	v_add_f32_e32 v7, v7, v63
	s_wait_dscnt 0x5
	v_mul_f32_e32 v63, v111, v107
	v_dual_mul_f32 v87, v110, v107 :: v_dual_add_f32 v8, v8, v64
	s_wait_dscnt 0x3
	v_mul_f32_e32 v91, v114, v119
	v_dual_add_f32 v7, v7, v66 :: v_dual_mul_f32 v64, v112, v109
	v_fmac_f32_e32 v72, v83, v86
	v_add_f32_e32 v8, v8, v65
	v_mul_f32_e32 v89, v113, v109
	v_mul_f32_e32 v65, v117, v121
	v_dual_mul_f32 v78, v96, v93 :: v_dual_mul_f32 v79, v99, v103
	s_delay_alu instid0(VALU_DEP_4)
	v_dual_add_f32 v8, v8, v68 :: v_dual_add_f32 v7, v7, v67
	v_dual_mul_f32 v67, v116, v121 :: v_dual_fmac_f32 v74, v85, v88
	ds_load_b128 v[34:37], v12 offset:192
	ds_load_b128 v[38:41], v12 offset:208
	s_wait_dscnt 0x3
	v_dual_add_f32 v8, v8, v70 :: v_dual_mul_f32 v93, v127, v123
	v_fma_f32 v68, v82, v86, -v71
	v_fmac_f32_e32 v76, v95, v90
	v_fma_f32 v70, v84, v88, -v73
	s_delay_alu instid0(VALU_DEP_4) | instskip(SKIP_3) | instid1(VALU_DEP_4)
	v_dual_add_f32 v8, v8, v72 :: v_dual_add_f32 v7, v7, v9
	v_fma_f32 v71, v94, v90, -v75
	v_dual_fmac_f32 v78, v97, v92 :: v_dual_mul_f32 v81, v100, v105
	v_mul_f32_e32 v66, v115, v119
	v_dual_add_f32 v8, v8, v74 :: v_dual_add_f32 v7, v7, v69
	v_mul_f32_e32 v69, v129, v125
	v_fma_f32 v72, v96, v92, -v77
	v_fmac_f32_e32 v62, v99, v102
	s_delay_alu instid0(VALU_DEP_4)
	v_add_f32_e32 v8, v8, v76
	v_add_f32_e32 v7, v7, v68
	v_fmac_f32_e32 v81, v101, v104
	v_fma_f32 v73, v100, v104, -v80
	v_fmac_f32_e32 v64, v113, v108
	v_add_f32_e32 v8, v8, v78
	v_add_f32_e32 v7, v7, v70
	s_wait_dscnt 0x1
	v_mul_f32_e32 v70, v131, v35
	v_mul_f32_e32 v35, v130, v35
	v_fmac_f32_e32 v87, v111, v106
	v_dual_add_f32 v8, v8, v62 :: v_dual_add_f32 v7, v7, v71
	v_fma_f32 v71, v98, v102, -v79
	ds_load_2addr_b64 v[42:45], v23 offset0:64 offset1:96
	v_fma_f32 v62, v110, v106, -v63
	v_dual_add_f32 v8, v8, v81 :: v_dual_add_f32 v7, v7, v72
	v_mul_f32_e32 v72, v133, v37
	v_mul_f32_e32 v37, v132, v37
	s_delay_alu instid0(VALU_DEP_3) | instskip(NEXT) | instid1(VALU_DEP_4)
	v_dual_fmac_f32 v35, v131, v34 :: v_dual_add_f32 v8, v8, v87
	v_add_f32_e32 v7, v7, v71
	v_fmac_f32_e32 v67, v117, v120
	v_fmac_f32_e32 v91, v115, v118
	v_dual_mul_f32 v9, v126, v123 :: v_dual_mul_f32 v68, v128, v125
	s_delay_alu instid0(VALU_DEP_4)
	v_dual_add_f32 v7, v7, v73 :: v_dual_add_f32 v8, v8, v64
	ds_load_2addr_b64 v[46:49], v23 offset0:128 offset1:160
	ds_load_b128 v[50:53], v12 offset:224
	ds_load_b128 v[54:57], v12 offset:240
	ds_load_2addr_b64 v[58:61], v23 offset0:192 offset1:224
	v_fma_f32 v71, v112, v108, -v89
	v_dual_add_f32 v7, v7, v62 :: v_dual_add_f32 v8, v8, v91
	v_fmac_f32_e32 v9, v127, v122
	s_wait_dscnt 0x4
	v_dual_mul_f32 v63, v43, v39 :: v_dual_mul_f32 v64, v45, v41
	v_dual_mul_f32 v39, v42, v39 :: v_dual_fmac_f32 v68, v129, v124
	v_add_f32_e32 v8, v8, v67
	v_fma_f32 v62, v114, v118, -v66
	v_add_f32_e32 v7, v7, v71
	v_fma_f32 v65, v116, v120, -v65
	s_delay_alu instid0(VALU_DEP_4) | instskip(SKIP_1) | instid1(VALU_DEP_4)
	v_dual_fmac_f32 v37, v133, v36 :: v_dual_add_f32 v8, v8, v9
	v_fmac_f32_e32 v39, v43, v38
	v_add_f32_e32 v7, v7, v62
	v_fma_f32 v62, v126, v122, -v93
	v_fma_f32 v66, v128, v124, -v69
	v_add_f32_e32 v8, v8, v68
	v_mul_f32_e32 v41, v44, v41
	s_delay_alu instid0(VALU_DEP_2) | instskip(SKIP_3) | instid1(VALU_DEP_3)
	v_add_f32_e32 v8, v8, v35
	s_wait_dscnt 0x2
	v_mul_f32_e32 v9, v46, v51
	v_mul_f32_e32 v35, v48, v53
	v_add_f32_e32 v8, v8, v37
	v_add_f32_e32 v7, v7, v65
	s_delay_alu instid0(VALU_DEP_3)
	v_fmac_f32_e32 v35, v49, v52
	v_fmac_f32_e32 v9, v47, v50
	s_wait_dscnt 0x0
	v_mul_f32_e32 v37, v59, v55
	v_dual_add_f32 v8, v8, v39 :: v_dual_add_f32 v7, v7, v62
	v_mul_f32_e32 v65, v47, v51
	v_fma_f32 v51, v130, v34, -v70
	v_fma_f32 v62, v132, v36, -v72
	;; [unrolled: 1-line block ×3, first 2 shown]
	v_add_f32_e32 v7, v7, v66
	v_fma_f32 v38, v44, v40, -v64
	v_mul_f32_e32 v34, v49, v53
	v_fma_f32 v37, v58, v54, -v37
	s_delay_alu instid0(VALU_DEP_4) | instskip(NEXT) | instid1(VALU_DEP_3)
	v_add_f32_e32 v7, v7, v51
	v_fma_f32 v34, v48, v52, -v34
	s_delay_alu instid0(VALU_DEP_2) | instskip(NEXT) | instid1(VALU_DEP_1)
	v_add_f32_e32 v7, v7, v62
	v_dual_add_f32 v7, v7, v36 :: v_dual_mul_f32 v36, v58, v55
	v_fmac_f32_e32 v41, v45, v40
	s_delay_alu instid0(VALU_DEP_2) | instskip(NEXT) | instid1(VALU_DEP_2)
	v_dual_add_f32 v7, v7, v38 :: v_dual_mul_f32 v38, v61, v57
	v_add_f32_e32 v8, v8, v41
	v_fma_f32 v39, v46, v50, -v65
	v_fmac_f32_e32 v36, v59, v54
	s_delay_alu instid0(VALU_DEP_2) | instskip(SKIP_1) | instid1(VALU_DEP_2)
	v_dual_add_f32 v8, v8, v9 :: v_dual_add_f32 v7, v7, v39
	v_mul_f32_e32 v9, v60, v57
	v_dual_add_f32 v8, v8, v35 :: v_dual_add_f32 v7, v7, v34
	v_fma_f32 v34, v60, v56, -v38
	s_delay_alu instid0(VALU_DEP_3) | instskip(NEXT) | instid1(VALU_DEP_3)
	v_fmac_f32_e32 v9, v61, v56
	v_dual_add_f32 v8, v8, v36 :: v_dual_add_f32 v7, v7, v37
	s_delay_alu instid0(VALU_DEP_1) | instskip(NEXT) | instid1(VALU_DEP_1)
	v_dual_add_f32 v8, v8, v9 :: v_dual_add_f32 v7, v7, v34
	v_dual_mul_f32 v9, s5, v8 :: v_dual_mul_f32 v34, s5, v7
	s_delay_alu instid0(VALU_DEP_1) | instskip(SKIP_1) | instid1(VALU_DEP_1)
	v_fma_f32 v7, s4, v7, -v9
	s_wait_loadcnt 0x0
	v_dual_fmac_f32 v34, s4, v8 :: v_dual_add_f32 v5, v5, v7
	s_delay_alu instid0(VALU_DEP_1)
	v_add_f32_e32 v6, v6, v34
	global_store_b64 v[1:2], v[5:6], off
	s_branch .LBB25_9
.LBB25_24:
	s_endpgm
	.section	.rodata,"a",@progbits
	.p2align	6, 0x0
	.amdhsa_kernel _ZL24rocblas_symm_hemm_kernelILb1ELb1ELi32EPK19rocblas_complex_numIfES3_PS1_EvbiiT2_T3_lllS6_lllT4_llli
		.amdhsa_group_segment_fixed_size 16384
		.amdhsa_private_segment_fixed_size 0
		.amdhsa_kernarg_size 384
		.amdhsa_user_sgpr_count 2
		.amdhsa_user_sgpr_dispatch_ptr 0
		.amdhsa_user_sgpr_queue_ptr 0
		.amdhsa_user_sgpr_kernarg_segment_ptr 1
		.amdhsa_user_sgpr_dispatch_id 0
		.amdhsa_user_sgpr_private_segment_size 0
		.amdhsa_wavefront_size32 1
		.amdhsa_uses_dynamic_stack 0
		.amdhsa_enable_private_segment 0
		.amdhsa_system_sgpr_workgroup_id_x 1
		.amdhsa_system_sgpr_workgroup_id_y 1
		.amdhsa_system_sgpr_workgroup_id_z 1
		.amdhsa_system_sgpr_workgroup_info 0
		.amdhsa_system_vgpr_workitem_id 1
		.amdhsa_next_free_vgpr 145
		.amdhsa_next_free_sgpr 39
		.amdhsa_reserve_vcc 1
		.amdhsa_float_round_mode_32 0
		.amdhsa_float_round_mode_16_64 0
		.amdhsa_float_denorm_mode_32 3
		.amdhsa_float_denorm_mode_16_64 3
		.amdhsa_fp16_overflow 0
		.amdhsa_workgroup_processor_mode 1
		.amdhsa_memory_ordered 1
		.amdhsa_forward_progress 1
		.amdhsa_inst_pref_size 21
		.amdhsa_round_robin_scheduling 0
		.amdhsa_exception_fp_ieee_invalid_op 0
		.amdhsa_exception_fp_denorm_src 0
		.amdhsa_exception_fp_ieee_div_zero 0
		.amdhsa_exception_fp_ieee_overflow 0
		.amdhsa_exception_fp_ieee_underflow 0
		.amdhsa_exception_fp_ieee_inexact 0
		.amdhsa_exception_int_div_zero 0
	.end_amdhsa_kernel
	.section	.text._ZL24rocblas_symm_hemm_kernelILb1ELb1ELi32EPK19rocblas_complex_numIfES3_PS1_EvbiiT2_T3_lllS6_lllT4_llli,"axG",@progbits,_ZL24rocblas_symm_hemm_kernelILb1ELb1ELi32EPK19rocblas_complex_numIfES3_PS1_EvbiiT2_T3_lllS6_lllT4_llli,comdat
.Lfunc_end25:
	.size	_ZL24rocblas_symm_hemm_kernelILb1ELb1ELi32EPK19rocblas_complex_numIfES3_PS1_EvbiiT2_T3_lllS6_lllT4_llli, .Lfunc_end25-_ZL24rocblas_symm_hemm_kernelILb1ELb1ELi32EPK19rocblas_complex_numIfES3_PS1_EvbiiT2_T3_lllS6_lllT4_llli
                                        ; -- End function
	.set _ZL24rocblas_symm_hemm_kernelILb1ELb1ELi32EPK19rocblas_complex_numIfES3_PS1_EvbiiT2_T3_lllS6_lllT4_llli.num_vgpr, 145
	.set _ZL24rocblas_symm_hemm_kernelILb1ELb1ELi32EPK19rocblas_complex_numIfES3_PS1_EvbiiT2_T3_lllS6_lllT4_llli.num_agpr, 0
	.set _ZL24rocblas_symm_hemm_kernelILb1ELb1ELi32EPK19rocblas_complex_numIfES3_PS1_EvbiiT2_T3_lllS6_lllT4_llli.numbered_sgpr, 39
	.set _ZL24rocblas_symm_hemm_kernelILb1ELb1ELi32EPK19rocblas_complex_numIfES3_PS1_EvbiiT2_T3_lllS6_lllT4_llli.num_named_barrier, 0
	.set _ZL24rocblas_symm_hemm_kernelILb1ELb1ELi32EPK19rocblas_complex_numIfES3_PS1_EvbiiT2_T3_lllS6_lllT4_llli.private_seg_size, 0
	.set _ZL24rocblas_symm_hemm_kernelILb1ELb1ELi32EPK19rocblas_complex_numIfES3_PS1_EvbiiT2_T3_lllS6_lllT4_llli.uses_vcc, 1
	.set _ZL24rocblas_symm_hemm_kernelILb1ELb1ELi32EPK19rocblas_complex_numIfES3_PS1_EvbiiT2_T3_lllS6_lllT4_llli.uses_flat_scratch, 0
	.set _ZL24rocblas_symm_hemm_kernelILb1ELb1ELi32EPK19rocblas_complex_numIfES3_PS1_EvbiiT2_T3_lllS6_lllT4_llli.has_dyn_sized_stack, 0
	.set _ZL24rocblas_symm_hemm_kernelILb1ELb1ELi32EPK19rocblas_complex_numIfES3_PS1_EvbiiT2_T3_lllS6_lllT4_llli.has_recursion, 0
	.set _ZL24rocblas_symm_hemm_kernelILb1ELb1ELi32EPK19rocblas_complex_numIfES3_PS1_EvbiiT2_T3_lllS6_lllT4_llli.has_indirect_call, 0
	.section	.AMDGPU.csdata,"",@progbits
; Kernel info:
; codeLenInByte = 2656
; TotalNumSgprs: 41
; NumVgprs: 145
; ScratchSize: 0
; MemoryBound: 0
; FloatMode: 240
; IeeeMode: 1
; LDSByteSize: 16384 bytes/workgroup (compile time only)
; SGPRBlocks: 0
; VGPRBlocks: 18
; NumSGPRsForWavesPerEU: 41
; NumVGPRsForWavesPerEU: 145
; Occupancy: 9
; WaveLimiterHint : 1
; COMPUTE_PGM_RSRC2:SCRATCH_EN: 0
; COMPUTE_PGM_RSRC2:USER_SGPR: 2
; COMPUTE_PGM_RSRC2:TRAP_HANDLER: 0
; COMPUTE_PGM_RSRC2:TGID_X_EN: 1
; COMPUTE_PGM_RSRC2:TGID_Y_EN: 1
; COMPUTE_PGM_RSRC2:TGID_Z_EN: 1
; COMPUTE_PGM_RSRC2:TIDIG_COMP_CNT: 1
	.section	.text._ZL24rocblas_symm_hemm_kernelILb1ELb0ELi32E19rocblas_complex_numIfEPKS1_PS1_EvbiiT2_T3_lllS6_lllT4_llli,"axG",@progbits,_ZL24rocblas_symm_hemm_kernelILb1ELb0ELi32E19rocblas_complex_numIfEPKS1_PS1_EvbiiT2_T3_lllS6_lllT4_llli,comdat
	.globl	_ZL24rocblas_symm_hemm_kernelILb1ELb0ELi32E19rocblas_complex_numIfEPKS1_PS1_EvbiiT2_T3_lllS6_lllT4_llli ; -- Begin function _ZL24rocblas_symm_hemm_kernelILb1ELb0ELi32E19rocblas_complex_numIfEPKS1_PS1_EvbiiT2_T3_lllS6_lllT4_llli
	.p2align	8
	.type	_ZL24rocblas_symm_hemm_kernelILb1ELb0ELi32E19rocblas_complex_numIfEPKS1_PS1_EvbiiT2_T3_lllS6_lllT4_llli,@function
_ZL24rocblas_symm_hemm_kernelILb1ELb0ELi32E19rocblas_complex_numIfEPKS1_PS1_EvbiiT2_T3_lllS6_lllT4_llli: ; @_ZL24rocblas_symm_hemm_kernelILb1ELb0ELi32E19rocblas_complex_numIfEPKS1_PS1_EvbiiT2_T3_lllS6_lllT4_llli
; %bb.0:
	s_clause 0x1
	s_load_b128 s[28:31], s[0:1], 0x0
	s_load_b32 s33, s[0:1], 0x10
	s_wait_kmcnt 0x0
	s_cmp_eq_f32 s31, 0
	s_cselect_b32 s2, -1, 0
	s_cmp_eq_f32 s33, 0
	s_cselect_b32 s3, -1, 0
	s_delay_alu instid0(SALU_CYCLE_1) | instskip(NEXT) | instid1(SALU_CYCLE_1)
	s_and_b32 s2, s2, s3
	s_and_b32 vcc_lo, exec_lo, s2
	s_cbranch_vccnz .LBB26_24
; %bb.1:
	s_load_b32 s36, s[0:1], 0x78
	s_lshr_b32 s34, ttmp7, 16
	s_wait_kmcnt 0x0
	s_cmp_ge_u32 s34, s36
	s_cbranch_scc1 .LBB26_24
; %bb.2:
	s_load_b512 s[4:19], s[0:1], 0x18
	v_and_b32_e32 v17, 0x3ff, v0
	s_load_b256 s[20:27], s[0:1], 0x58
	v_bfe_u32 v16, v0, 10, 10
	s_delay_alu instid0(VALU_DEP_2) | instskip(SKIP_1) | instid1(VALU_DEP_3)
	v_lshl_add_u32 v0, ttmp9, 5, v17
	v_lshlrev_b32_e32 v18, 8, v17
	v_lshlrev_b32_e32 v2, 3, v16
	s_delay_alu instid0(VALU_DEP_3) | instskip(SKIP_1) | instid1(VALU_DEP_3)
	v_ashrrev_i32_e32 v1, 31, v0
	v_cmp_gt_i32_e64 s2, s29, v0
	v_or_b32_e32 v19, 0x2000, v2
	v_add_nc_u32_e32 v20, v18, v2
	s_delay_alu instid0(VALU_DEP_4) | instskip(NEXT) | instid1(VALU_DEP_3)
	v_lshlrev_b64_e32 v[2:3], 3, v[0:1]
	v_add_nc_u32_e32 v21, v19, v18
	v_add_nc_u32_e32 v23, 0x800, v19
	s_wait_kmcnt 0x0
	s_lshl_b64 s[14:15], s[14:15], 3
	s_lshl_b64 s[38:39], s[6:7], 3
	v_mul_lo_u32 v1, s8, v1
	v_mul_lo_u32 v6, s9, v0
	v_mad_co_u64_u32 v[4:5], null, s8, v0, 0
	s_bitcmp1_b32 s28, 0
	s_add_nc_u64 s[6:7], s[12:13], s[14:15]
	s_cselect_b32 s3, -1, 0
	s_add_co_i32 s28, s30, -1
	s_lshl_b64 s[12:13], s[22:23], 3
	s_wait_alu 0xfffe
	s_ashr_i32 s35, s28, 31
	v_add3_u32 v5, v5, v1, v6
	s_lshr_b32 s14, s35, 27
	s_add_nc_u64 s[12:13], s[20:21], s[12:13]
	s_add_co_i32 s28, s28, s14
	s_and_b32 s22, ttmp7, 0xffff
	s_wait_alu 0xfffe
	s_ashr_i32 s23, s28, 5
	v_add_co_u32 v1, vcc_lo, s12, v2
	s_cmp_le_i32 s22, s23
	v_lshlrev_b64_e32 v[4:5], 3, v[4:5]
	v_add_co_ci_u32_e64 v22, null, s13, v3, vcc_lo
	v_add_nc_u32_e32 v24, 0x1000, v19
	v_add_nc_u32_e32 v25, 0x1800, v19
	s_cselect_b32 s20, -1, 0
	s_cmp_gt_i32 s29, 0
	s_add_nc_u64 s[4:5], s[4:5], s[38:39]
	s_cselect_b32 s21, -1, 0
	s_mov_b32 s35, 0
	s_add_nc_u64 s[12:13], s[0:1], 0x80
	s_branch .LBB26_4
.LBB26_3:                               ;   in Loop: Header=BB26_4 Depth=1
	s_add_co_i32 s34, s34, 0x10000
	s_delay_alu instid0(SALU_CYCLE_1)
	s_cmp_lt_u32 s34, s36
	s_cbranch_scc0 .LBB26_24
.LBB26_4:                               ; =>This Loop Header: Depth=1
                                        ;     Child Loop BB26_7 Depth 2
                                        ;       Child Loop BB26_10 Depth 3
	s_and_not1_b32 vcc_lo, exec_lo, s20
	s_wait_alu 0xfffe
	s_cbranch_vccnz .LBB26_3
; %bb.5:                                ;   in Loop: Header=BB26_4 Depth=1
	s_mul_u64 s[14:15], s[10:11], s[34:35]
	s_load_b32 s28, s[12:13], 0x4
	s_lshl_b64 s[14:15], s[14:15], 3
	s_mul_u64 s[38:39], s[26:27], s[34:35]
	s_wait_alu 0xfffe
	s_add_nc_u64 s[14:15], s[4:5], s[14:15]
	s_mul_u64 s[0:1], s[18:19], s[34:35]
	s_wait_alu 0xfffe
	v_add_co_u32 v26, vcc_lo, s14, v2
	s_wait_alu 0xfffd
	v_add_co_ci_u32_e64 v27, null, s15, v3, vcc_lo
	v_add_co_u32 v28, vcc_lo, s14, v4
	s_wait_alu 0xfffd
	v_add_co_ci_u32_e64 v29, null, s15, v5, vcc_lo
	s_lshl_b64 s[14:15], s[38:39], 3
	s_lshl_b64 s[0:1], s[0:1], 3
	s_wait_alu 0xfffe
	v_add_co_u32 v30, vcc_lo, v1, s14
	s_wait_alu 0xfffd
	v_add_co_ci_u32_e64 v31, null, s15, v22, vcc_lo
	v_add_co_u32 v6, vcc_lo, v26, v4
	s_wait_alu 0xfffd
	v_add_co_ci_u32_e64 v7, null, v27, v5, vcc_lo
	s_add_nc_u64 s[14:15], s[6:7], s[0:1]
	s_mov_b32 s37, s22
	s_branch .LBB26_7
.LBB26_6:                               ;   in Loop: Header=BB26_7 Depth=2
	s_wait_kmcnt 0x0
	s_add_co_i32 s37, s37, s28
	s_wait_alu 0xfffe
	s_cmp_gt_i32 s37, s23
	s_cbranch_scc1 .LBB26_3
.LBB26_7:                               ;   Parent Loop BB26_4 Depth=1
                                        ; =>  This Loop Header: Depth=2
                                        ;       Child Loop BB26_10 Depth 3
	s_and_not1_b32 vcc_lo, exec_lo, s21
	s_wait_alu 0xfffe
	s_cbranch_vccnz .LBB26_6
; %bb.8:                                ;   in Loop: Header=BB26_7 Depth=2
	v_lshl_add_u32 v12, s37, 5, v16
	s_mov_b32 s39, 0
	s_delay_alu instid0(VALU_DEP_1) | instskip(SKIP_3) | instid1(VALU_DEP_4)
	v_ashrrev_i32_e32 v13, 31, v12
	v_mul_lo_u32 v14, s17, v12
	v_mad_co_u64_u32 v[8:9], null, s16, v12, 0
	v_mul_lo_u32 v32, s25, v12
	v_mul_lo_u32 v15, s16, v13
	v_mad_co_u64_u32 v[10:11], null, s24, v12, 0
	v_mul_lo_u32 v13, s24, v13
	v_cmp_gt_i32_e32 vcc_lo, s30, v12
	s_delay_alu instid0(VALU_DEP_4) | instskip(SKIP_1) | instid1(VALU_DEP_3)
	v_add3_u32 v9, v9, v15, v14
	s_and_b32 s38, s2, vcc_lo
	v_add3_u32 v11, v11, v13, v32
	s_delay_alu instid0(VALU_DEP_2) | instskip(NEXT) | instid1(VALU_DEP_2)
	v_lshlrev_b64_e32 v[8:9], 3, v[8:9]
	v_lshlrev_b64_e32 v[10:11], 3, v[10:11]
	s_delay_alu instid0(VALU_DEP_2) | instskip(SKIP_1) | instid1(VALU_DEP_3)
	v_add_co_u32 v32, s0, s14, v8
	s_wait_alu 0xf1ff
	v_add_co_ci_u32_e64 v33, null, s15, v9, s0
	s_delay_alu instid0(VALU_DEP_3)
	v_add_co_u32 v8, s0, v30, v10
	s_wait_alu 0xf1ff
	v_add_co_ci_u32_e64 v9, null, v31, v11, s0
	s_branch .LBB26_10
.LBB26_9:                               ;   in Loop: Header=BB26_10 Depth=3
	s_wait_alu 0xfffe
	s_or_b32 exec_lo, exec_lo, s0
	s_add_co_i32 s39, s39, 32
	s_wait_loadcnt 0x0
	s_wait_storecnt 0x0
	s_wait_alu 0xfffe
	s_cmp_ge_i32 s39, s29
	s_barrier_signal -1
	s_barrier_wait -1
	global_inv scope:SCOPE_SE
	s_cbranch_scc1 .LBB26_6
.LBB26_10:                              ;   Parent Loop BB26_4 Depth=1
                                        ;     Parent Loop BB26_7 Depth=2
                                        ; =>    This Inner Loop Header: Depth=3
	s_wait_alu 0xfffe
	v_add_nc_u32_e32 v11, s39, v16
	s_mov_b32 s40, exec_lo
	s_delay_alu instid0(VALU_DEP_1) | instskip(SKIP_1) | instid1(VALU_DEP_1)
	v_cndmask_b32_e64 v13, v11, v0, s3
	v_cndmask_b32_e64 v14, v0, v11, s3
	v_cmp_gt_i32_e64 s0, v13, v14
	s_wait_alu 0xf1ff
	s_delay_alu instid0(VALU_DEP_1) | instskip(SKIP_3) | instid1(VALU_DEP_3)
	v_cndmask_b32_e64 v10, v0, v11, s0
	v_cndmask_b32_e64 v12, v11, v0, s0
	v_cmp_le_i32_e64 s0, v13, v14
	v_mov_b32_e32 v13, 0
	v_max_i32_e32 v15, v10, v12
	v_mov_b32_e32 v10, 0
	v_mov_b32_e32 v12, 0
	s_delay_alu instid0(VALU_DEP_3)
	v_cmpx_gt_i32_e64 s29, v15
	s_cbranch_execz .LBB26_20
; %bb.11:                               ;   in Loop: Header=BB26_10 Depth=3
                                        ; implicit-def: $vgpr13
	s_and_saveexec_b32 s1, s0
	s_wait_alu 0xfffe
	s_xor_b32 s1, exec_lo, s1
	s_cbranch_execz .LBB26_17
; %bb.12:                               ;   in Loop: Header=BB26_10 Depth=3
	s_mov_b32 s41, exec_lo
                                        ; implicit-def: $vgpr13
	v_cmpx_ne_u32_e64 v11, v0
	s_xor_b32 s41, exec_lo, s41
	s_cbranch_execz .LBB26_14
; %bb.13:                               ;   in Loop: Header=BB26_10 Depth=3
	v_ashrrev_i32_e32 v13, 31, v11
	v_mul_lo_u32 v14, s9, v11
	v_mad_co_u64_u32 v[11:12], null, s8, v11, 0
	s_delay_alu instid0(VALU_DEP_3) | instskip(NEXT) | instid1(VALU_DEP_1)
	v_mul_lo_u32 v13, s8, v13
	v_add3_u32 v12, v12, v13, v14
	s_delay_alu instid0(VALU_DEP_1) | instskip(NEXT) | instid1(VALU_DEP_1)
	v_lshlrev_b64_e32 v[11:12], 3, v[11:12]
	v_add_co_u32 v11, s0, v26, v11
	s_wait_alu 0xf1ff
	s_delay_alu instid0(VALU_DEP_2)
	v_add_co_ci_u32_e64 v12, null, v27, v12, s0
	global_load_b64 v[12:13], v[11:12], off
.LBB26_14:                              ;   in Loop: Header=BB26_10 Depth=3
	s_and_not1_saveexec_b32 s0, s41
	s_cbranch_execz .LBB26_16
; %bb.15:                               ;   in Loop: Header=BB26_10 Depth=3
	s_wait_loadcnt 0x0
	global_load_b32 v12, v[6:7], off
	v_mov_b32_e32 v13, 0
.LBB26_16:                              ;   in Loop: Header=BB26_10 Depth=3
	s_wait_alu 0xfffe
	s_or_b32 exec_lo, exec_lo, s0
                                        ; implicit-def: $vgpr11
.LBB26_17:                              ;   in Loop: Header=BB26_10 Depth=3
	s_wait_alu 0xfffe
	s_and_not1_saveexec_b32 s1, s1
	s_cbranch_execz .LBB26_19
; %bb.18:                               ;   in Loop: Header=BB26_10 Depth=3
	s_wait_loadcnt 0x0
	v_ashrrev_i32_e32 v12, 31, v11
	s_delay_alu instid0(VALU_DEP_1) | instskip(NEXT) | instid1(VALU_DEP_1)
	v_lshlrev_b64_e32 v[11:12], 3, v[11:12]
	v_add_co_u32 v11, s0, v28, v11
	s_wait_alu 0xf1ff
	s_delay_alu instid0(VALU_DEP_2)
	v_add_co_ci_u32_e64 v12, null, v29, v12, s0
	global_load_b64 v[12:13], v[11:12], off
	s_wait_loadcnt 0x0
	v_xor_b32_e32 v13, 0x80000000, v13
.LBB26_19:                              ;   in Loop: Header=BB26_10 Depth=3
	s_wait_alu 0xfffe
	s_or_b32 exec_lo, exec_lo, s1
.LBB26_20:                              ;   in Loop: Header=BB26_10 Depth=3
	s_delay_alu instid0(SALU_CYCLE_1)
	s_or_b32 exec_lo, exec_lo, s40
	v_dual_mov_b32 v11, 0 :: v_dual_add_nc_u32 v14, s39, v17
	s_wait_loadcnt 0x0
	ds_store_b64 v20, v[12:13]
	v_cmp_gt_i32_e64 s0, s29, v14
	s_and_b32 s0, s0, vcc_lo
	s_wait_alu 0xfffe
	s_and_saveexec_b32 s1, s0
	s_cbranch_execz .LBB26_22
; %bb.21:                               ;   in Loop: Header=BB26_10 Depth=3
	v_ashrrev_i32_e32 v15, 31, v14
	s_delay_alu instid0(VALU_DEP_1) | instskip(NEXT) | instid1(VALU_DEP_1)
	v_lshlrev_b64_e32 v[10:11], 3, v[14:15]
	v_add_co_u32 v10, s0, v32, v10
	s_wait_alu 0xf1ff
	s_delay_alu instid0(VALU_DEP_2)
	v_add_co_ci_u32_e64 v11, null, v33, v11, s0
	global_load_b64 v[10:11], v[10:11], off
.LBB26_22:                              ;   in Loop: Header=BB26_10 Depth=3
	s_wait_alu 0xfffe
	s_or_b32 exec_lo, exec_lo, s1
	s_wait_loadcnt 0x0
	ds_store_b64 v21, v[10:11]
	s_wait_dscnt 0x0
	s_barrier_signal -1
	s_barrier_wait -1
	global_inv scope:SCOPE_SE
	s_and_saveexec_b32 s0, s38
	s_cbranch_execz .LBB26_9
; %bb.23:                               ;   in Loop: Header=BB26_10 Depth=3
	ds_load_b128 v[10:13], v18
	ds_load_b128 v[34:37], v18 offset:16
	ds_load_b128 v[38:41], v18 offset:32
	;; [unrolled: 1-line block ×3, first 2 shown]
	ds_load_2addr_b64 v[46:49], v19 offset1:32
	s_wait_dscnt 0x0
	v_mul_f32_e32 v14, v47, v11
	s_delay_alu instid0(VALU_DEP_1) | instskip(SKIP_1) | instid1(VALU_DEP_1)
	v_fma_f32 v14, v46, v10, -v14
	v_mul_f32_e32 v11, v46, v11
	v_fmac_f32_e32 v11, v47, v10
	s_delay_alu instid0(VALU_DEP_3) | instskip(SKIP_2) | instid1(VALU_DEP_2)
	v_add_f32_e32 v10, 0, v14
	v_mul_f32_e32 v14, v49, v13
	v_mul_f32_e32 v13, v48, v13
	v_fma_f32 v14, v48, v12, -v14
	v_add_f32_e32 v11, 0, v11
	s_delay_alu instid0(VALU_DEP_2) | instskip(NEXT) | instid1(VALU_DEP_1)
	v_dual_fmac_f32 v13, v49, v12 :: v_dual_add_f32 v14, v10, v14
	v_add_f32_e32 v15, v11, v13
	ds_load_2addr_b64 v[10:13], v19 offset0:64 offset1:96
	s_wait_dscnt 0x0
	v_mul_f32_e32 v46, v11, v35
	s_delay_alu instid0(VALU_DEP_1) | instskip(SKIP_1) | instid1(VALU_DEP_1)
	v_fma_f32 v46, v10, v34, -v46
	v_mul_f32_e32 v10, v10, v35
	v_fmac_f32_e32 v10, v11, v34
	s_delay_alu instid0(VALU_DEP_3) | instskip(NEXT) | instid1(VALU_DEP_2)
	v_dual_add_f32 v11, v14, v46 :: v_dual_mul_f32 v14, v13, v37
	v_add_f32_e32 v10, v15, v10
	s_delay_alu instid0(VALU_DEP_2) | instskip(NEXT) | instid1(VALU_DEP_1)
	v_fma_f32 v14, v12, v36, -v14
	v_add_f32_e32 v14, v11, v14
	v_mul_f32_e32 v12, v12, v37
	s_delay_alu instid0(VALU_DEP_1) | instskip(NEXT) | instid1(VALU_DEP_1)
	v_fmac_f32_e32 v12, v13, v36
	v_add_f32_e32 v15, v10, v12
	ds_load_2addr_b64 v[10:13], v19 offset0:128 offset1:160
	s_wait_dscnt 0x0
	v_mul_f32_e32 v34, v11, v39
	s_delay_alu instid0(VALU_DEP_1) | instskip(SKIP_1) | instid1(VALU_DEP_1)
	v_fma_f32 v34, v10, v38, -v34
	v_mul_f32_e32 v10, v10, v39
	v_fmac_f32_e32 v10, v11, v38
	s_delay_alu instid0(VALU_DEP_3) | instskip(NEXT) | instid1(VALU_DEP_2)
	v_dual_add_f32 v11, v14, v34 :: v_dual_mul_f32 v14, v13, v41
	v_add_f32_e32 v10, v15, v10
	s_delay_alu instid0(VALU_DEP_2) | instskip(SKIP_1) | instid1(VALU_DEP_2)
	v_fma_f32 v14, v12, v40, -v14
	v_mul_f32_e32 v12, v12, v41
	v_add_f32_e32 v14, v11, v14
	s_delay_alu instid0(VALU_DEP_2) | instskip(NEXT) | instid1(VALU_DEP_1)
	v_fmac_f32_e32 v12, v13, v40
	v_add_f32_e32 v15, v10, v12
	ds_load_2addr_b64 v[10:13], v19 offset0:192 offset1:224
	s_wait_dscnt 0x0
	v_mul_f32_e32 v34, v11, v43
	s_delay_alu instid0(VALU_DEP_1) | instskip(SKIP_1) | instid1(VALU_DEP_1)
	v_fma_f32 v34, v10, v42, -v34
	v_mul_f32_e32 v10, v10, v43
	v_fmac_f32_e32 v10, v11, v42
	s_delay_alu instid0(VALU_DEP_3) | instskip(NEXT) | instid1(VALU_DEP_2)
	v_dual_add_f32 v11, v14, v34 :: v_dual_mul_f32 v14, v13, v45
	v_add_f32_e32 v10, v15, v10
	s_delay_alu instid0(VALU_DEP_2) | instskip(SKIP_1) | instid1(VALU_DEP_2)
	v_fma_f32 v14, v12, v44, -v14
	v_mul_f32_e32 v12, v12, v45
	v_add_f32_e32 v14, v11, v14
	s_delay_alu instid0(VALU_DEP_2) | instskip(NEXT) | instid1(VALU_DEP_1)
	v_fmac_f32_e32 v12, v13, v44
	v_add_f32_e32 v15, v10, v12
	ds_load_b128 v[10:13], v18 offset:64
	ds_load_2addr_b64 v[34:37], v23 offset1:32
	s_wait_dscnt 0x0
	v_mul_f32_e32 v38, v35, v11
	v_mul_f32_e32 v11, v34, v11
	s_delay_alu instid0(VALU_DEP_2) | instskip(NEXT) | instid1(VALU_DEP_2)
	v_fma_f32 v38, v34, v10, -v38
	v_fmac_f32_e32 v11, v35, v10
	s_delay_alu instid0(VALU_DEP_2) | instskip(SKIP_2) | instid1(VALU_DEP_4)
	v_add_f32_e32 v10, v14, v38
	v_mul_f32_e32 v14, v37, v13
	v_mul_f32_e32 v13, v36, v13
	v_add_f32_e32 v11, v15, v11
	s_delay_alu instid0(VALU_DEP_3) | instskip(NEXT) | instid1(VALU_DEP_1)
	v_fma_f32 v14, v36, v12, -v14
	v_dual_fmac_f32 v13, v37, v12 :: v_dual_add_f32 v14, v10, v14
	s_delay_alu instid0(VALU_DEP_1)
	v_add_f32_e32 v15, v11, v13
	ds_load_b128 v[10:13], v18 offset:80
	ds_load_2addr_b64 v[34:37], v23 offset0:64 offset1:96
	s_wait_dscnt 0x0
	v_mul_f32_e32 v38, v35, v11
	v_mul_f32_e32 v11, v34, v11
	s_delay_alu instid0(VALU_DEP_2) | instskip(NEXT) | instid1(VALU_DEP_2)
	v_fma_f32 v38, v34, v10, -v38
	v_fmac_f32_e32 v11, v35, v10
	s_delay_alu instid0(VALU_DEP_2) | instskip(SKIP_2) | instid1(VALU_DEP_4)
	v_add_f32_e32 v10, v14, v38
	v_mul_f32_e32 v14, v37, v13
	v_mul_f32_e32 v13, v36, v13
	v_add_f32_e32 v11, v15, v11
	s_delay_alu instid0(VALU_DEP_3) | instskip(NEXT) | instid1(VALU_DEP_1)
	v_fma_f32 v14, v36, v12, -v14
	v_dual_fmac_f32 v13, v37, v12 :: v_dual_add_f32 v14, v10, v14
	s_delay_alu instid0(VALU_DEP_1)
	v_add_f32_e32 v15, v11, v13
	ds_load_b128 v[10:13], v18 offset:96
	ds_load_2addr_b64 v[34:37], v23 offset0:128 offset1:160
	;; [unrolled: 18-line block ×3, first 2 shown]
	s_wait_dscnt 0x0
	v_mul_f32_e32 v38, v35, v11
	v_mul_f32_e32 v11, v34, v11
	s_delay_alu instid0(VALU_DEP_2) | instskip(NEXT) | instid1(VALU_DEP_2)
	v_fma_f32 v38, v34, v10, -v38
	v_fmac_f32_e32 v11, v35, v10
	s_delay_alu instid0(VALU_DEP_2) | instskip(SKIP_2) | instid1(VALU_DEP_4)
	v_add_f32_e32 v10, v14, v38
	v_mul_f32_e32 v14, v37, v13
	v_mul_f32_e32 v13, v36, v13
	v_add_f32_e32 v11, v15, v11
	s_delay_alu instid0(VALU_DEP_3) | instskip(NEXT) | instid1(VALU_DEP_1)
	v_fma_f32 v14, v36, v12, -v14
	v_dual_fmac_f32 v13, v37, v12 :: v_dual_add_f32 v14, v10, v14
	s_delay_alu instid0(VALU_DEP_1)
	v_add_f32_e32 v15, v11, v13
	ds_load_b128 v[10:13], v18 offset:128
	ds_load_2addr_b64 v[34:37], v24 offset1:32
	s_wait_dscnt 0x0
	v_mul_f32_e32 v38, v35, v11
	v_mul_f32_e32 v11, v34, v11
	s_delay_alu instid0(VALU_DEP_2) | instskip(NEXT) | instid1(VALU_DEP_2)
	v_fma_f32 v38, v34, v10, -v38
	v_fmac_f32_e32 v11, v35, v10
	s_delay_alu instid0(VALU_DEP_2) | instskip(SKIP_2) | instid1(VALU_DEP_4)
	v_add_f32_e32 v10, v14, v38
	v_mul_f32_e32 v14, v37, v13
	v_mul_f32_e32 v13, v36, v13
	v_add_f32_e32 v11, v15, v11
	s_delay_alu instid0(VALU_DEP_3) | instskip(NEXT) | instid1(VALU_DEP_1)
	v_fma_f32 v14, v36, v12, -v14
	v_dual_fmac_f32 v13, v37, v12 :: v_dual_add_f32 v14, v10, v14
	s_delay_alu instid0(VALU_DEP_1)
	v_add_f32_e32 v15, v11, v13
	ds_load_b128 v[10:13], v18 offset:144
	ds_load_2addr_b64 v[34:37], v24 offset0:64 offset1:96
	s_wait_dscnt 0x0
	v_mul_f32_e32 v38, v35, v11
	v_mul_f32_e32 v11, v34, v11
	s_delay_alu instid0(VALU_DEP_2) | instskip(NEXT) | instid1(VALU_DEP_2)
	v_fma_f32 v38, v34, v10, -v38
	v_fmac_f32_e32 v11, v35, v10
	s_delay_alu instid0(VALU_DEP_2) | instskip(SKIP_2) | instid1(VALU_DEP_4)
	v_add_f32_e32 v10, v14, v38
	v_mul_f32_e32 v14, v37, v13
	v_mul_f32_e32 v13, v36, v13
	v_add_f32_e32 v11, v15, v11
	s_delay_alu instid0(VALU_DEP_3) | instskip(NEXT) | instid1(VALU_DEP_1)
	v_fma_f32 v14, v36, v12, -v14
	v_dual_fmac_f32 v13, v37, v12 :: v_dual_add_f32 v14, v10, v14
	s_delay_alu instid0(VALU_DEP_1)
	v_add_f32_e32 v15, v11, v13
	ds_load_b128 v[10:13], v18 offset:160
	ds_load_2addr_b64 v[34:37], v24 offset0:128 offset1:160
	s_wait_dscnt 0x0
	v_mul_f32_e32 v38, v35, v11
	v_mul_f32_e32 v11, v34, v11
	s_delay_alu instid0(VALU_DEP_2) | instskip(NEXT) | instid1(VALU_DEP_2)
	v_fma_f32 v38, v34, v10, -v38
	v_fmac_f32_e32 v11, v35, v10
	s_delay_alu instid0(VALU_DEP_2) | instskip(SKIP_2) | instid1(VALU_DEP_4)
	v_add_f32_e32 v10, v14, v38
	v_mul_f32_e32 v14, v37, v13
	v_mul_f32_e32 v13, v36, v13
	v_add_f32_e32 v11, v15, v11
	s_delay_alu instid0(VALU_DEP_3) | instskip(NEXT) | instid1(VALU_DEP_1)
	v_fma_f32 v14, v36, v12, -v14
	v_dual_fmac_f32 v13, v37, v12 :: v_dual_add_f32 v14, v10, v14
	s_delay_alu instid0(VALU_DEP_1)
	v_add_f32_e32 v15, v11, v13
	ds_load_b128 v[10:13], v18 offset:176
	ds_load_2addr_b64 v[34:37], v24 offset0:192 offset1:224
	s_wait_dscnt 0x0
	v_mul_f32_e32 v38, v35, v11
	v_mul_f32_e32 v11, v34, v11
	s_delay_alu instid0(VALU_DEP_2) | instskip(NEXT) | instid1(VALU_DEP_2)
	v_fma_f32 v38, v34, v10, -v38
	v_fmac_f32_e32 v11, v35, v10
	s_delay_alu instid0(VALU_DEP_1) | instskip(SKIP_2) | instid1(VALU_DEP_2)
	v_dual_add_f32 v11, v15, v11 :: v_dual_add_f32 v10, v14, v38
	v_mul_f32_e32 v14, v37, v13
	v_mul_f32_e32 v13, v36, v13
	v_fma_f32 v14, v36, v12, -v14
	s_delay_alu instid0(VALU_DEP_2) | instskip(NEXT) | instid1(VALU_DEP_1)
	v_fmac_f32_e32 v13, v37, v12
	v_dual_add_f32 v15, v11, v13 :: v_dual_add_f32 v14, v10, v14
	ds_load_b128 v[10:13], v18 offset:192
	ds_load_2addr_b64 v[34:37], v25 offset1:32
	s_wait_dscnt 0x0
	v_mul_f32_e32 v38, v35, v11
	v_mul_f32_e32 v11, v34, v11
	s_delay_alu instid0(VALU_DEP_2) | instskip(NEXT) | instid1(VALU_DEP_2)
	v_fma_f32 v38, v34, v10, -v38
	v_fmac_f32_e32 v11, v35, v10
	s_delay_alu instid0(VALU_DEP_1) | instskip(SKIP_2) | instid1(VALU_DEP_2)
	v_dual_add_f32 v11, v15, v11 :: v_dual_add_f32 v10, v14, v38
	v_mul_f32_e32 v14, v37, v13
	v_mul_f32_e32 v13, v36, v13
	v_fma_f32 v14, v36, v12, -v14
	s_delay_alu instid0(VALU_DEP_2) | instskip(NEXT) | instid1(VALU_DEP_1)
	v_fmac_f32_e32 v13, v37, v12
	v_dual_add_f32 v15, v11, v13 :: v_dual_add_f32 v14, v10, v14
	ds_load_b128 v[10:13], v18 offset:208
	ds_load_2addr_b64 v[34:37], v25 offset0:64 offset1:96
	s_wait_dscnt 0x0
	v_mul_f32_e32 v38, v35, v11
	v_mul_f32_e32 v11, v34, v11
	s_delay_alu instid0(VALU_DEP_2) | instskip(NEXT) | instid1(VALU_DEP_2)
	v_fma_f32 v38, v34, v10, -v38
	v_fmac_f32_e32 v11, v35, v10
	s_delay_alu instid0(VALU_DEP_1) | instskip(SKIP_2) | instid1(VALU_DEP_2)
	v_dual_add_f32 v11, v15, v11 :: v_dual_add_f32 v10, v14, v38
	v_mul_f32_e32 v14, v37, v13
	v_mul_f32_e32 v13, v36, v13
	v_fma_f32 v14, v36, v12, -v14
	s_delay_alu instid0(VALU_DEP_1) | instskip(NEXT) | instid1(VALU_DEP_1)
	v_dual_fmac_f32 v13, v37, v12 :: v_dual_add_f32 v14, v10, v14
	v_add_f32_e32 v15, v11, v13
	ds_load_b128 v[10:13], v18 offset:224
	ds_load_2addr_b64 v[34:37], v25 offset0:128 offset1:160
	s_wait_dscnt 0x0
	v_mul_f32_e32 v38, v35, v11
	v_mul_f32_e32 v11, v34, v11
	s_delay_alu instid0(VALU_DEP_2) | instskip(NEXT) | instid1(VALU_DEP_2)
	v_fma_f32 v38, v34, v10, -v38
	v_fmac_f32_e32 v11, v35, v10
	s_delay_alu instid0(VALU_DEP_1) | instskip(SKIP_2) | instid1(VALU_DEP_2)
	v_dual_add_f32 v10, v14, v38 :: v_dual_add_f32 v11, v15, v11
	v_mul_f32_e32 v14, v37, v13
	v_mul_f32_e32 v13, v36, v13
	v_fma_f32 v14, v36, v12, -v14
	s_delay_alu instid0(VALU_DEP_1) | instskip(NEXT) | instid1(VALU_DEP_1)
	v_dual_fmac_f32 v13, v37, v12 :: v_dual_add_f32 v14, v10, v14
	v_add_f32_e32 v15, v11, v13
	ds_load_b128 v[10:13], v18 offset:240
	ds_load_2addr_b64 v[34:37], v25 offset0:192 offset1:224
	s_wait_dscnt 0x0
	v_mul_f32_e32 v38, v35, v11
	v_mul_f32_e32 v11, v34, v11
	s_delay_alu instid0(VALU_DEP_2) | instskip(NEXT) | instid1(VALU_DEP_2)
	v_fma_f32 v38, v34, v10, -v38
	v_fmac_f32_e32 v11, v35, v10
	s_delay_alu instid0(VALU_DEP_2) | instskip(SKIP_2) | instid1(VALU_DEP_2)
	v_add_f32_e32 v10, v14, v38
	v_mul_f32_e32 v14, v37, v13
	v_mul_f32_e32 v13, v36, v13
	v_fma_f32 v14, v36, v12, -v14
	v_add_f32_e32 v11, v15, v11
	s_delay_alu instid0(VALU_DEP_2) | instskip(NEXT) | instid1(VALU_DEP_1)
	v_dual_fmac_f32 v13, v37, v12 :: v_dual_add_f32 v12, v10, v14
	v_add_f32_e32 v13, v11, v13
	s_delay_alu instid0(VALU_DEP_1) | instskip(NEXT) | instid1(VALU_DEP_1)
	v_dual_mul_f32 v11, s33, v12 :: v_dual_mul_f32 v10, s33, v13
	v_fmac_f32_e32 v11, s31, v13
	s_delay_alu instid0(VALU_DEP_2)
	v_fma_f32 v10, s31, v12, -v10
	global_load_b64 v[12:13], v[8:9], off
	s_wait_loadcnt 0x0
	v_dual_add_f32 v10, v12, v10 :: v_dual_add_f32 v11, v13, v11
	global_store_b64 v[8:9], v[10:11], off
	s_branch .LBB26_9
.LBB26_24:
	s_endpgm
	.section	.rodata,"a",@progbits
	.p2align	6, 0x0
	.amdhsa_kernel _ZL24rocblas_symm_hemm_kernelILb1ELb0ELi32E19rocblas_complex_numIfEPKS1_PS1_EvbiiT2_T3_lllS6_lllT4_llli
		.amdhsa_group_segment_fixed_size 16384
		.amdhsa_private_segment_fixed_size 0
		.amdhsa_kernarg_size 384
		.amdhsa_user_sgpr_count 2
		.amdhsa_user_sgpr_dispatch_ptr 0
		.amdhsa_user_sgpr_queue_ptr 0
		.amdhsa_user_sgpr_kernarg_segment_ptr 1
		.amdhsa_user_sgpr_dispatch_id 0
		.amdhsa_user_sgpr_private_segment_size 0
		.amdhsa_wavefront_size32 1
		.amdhsa_uses_dynamic_stack 0
		.amdhsa_enable_private_segment 0
		.amdhsa_system_sgpr_workgroup_id_x 1
		.amdhsa_system_sgpr_workgroup_id_y 1
		.amdhsa_system_sgpr_workgroup_id_z 1
		.amdhsa_system_sgpr_workgroup_info 0
		.amdhsa_system_vgpr_workitem_id 1
		.amdhsa_next_free_vgpr 50
		.amdhsa_next_free_sgpr 42
		.amdhsa_reserve_vcc 1
		.amdhsa_float_round_mode_32 0
		.amdhsa_float_round_mode_16_64 0
		.amdhsa_float_denorm_mode_32 3
		.amdhsa_float_denorm_mode_16_64 3
		.amdhsa_fp16_overflow 0
		.amdhsa_workgroup_processor_mode 1
		.amdhsa_memory_ordered 1
		.amdhsa_forward_progress 1
		.amdhsa_inst_pref_size 22
		.amdhsa_round_robin_scheduling 0
		.amdhsa_exception_fp_ieee_invalid_op 0
		.amdhsa_exception_fp_denorm_src 0
		.amdhsa_exception_fp_ieee_div_zero 0
		.amdhsa_exception_fp_ieee_overflow 0
		.amdhsa_exception_fp_ieee_underflow 0
		.amdhsa_exception_fp_ieee_inexact 0
		.amdhsa_exception_int_div_zero 0
	.end_amdhsa_kernel
	.section	.text._ZL24rocblas_symm_hemm_kernelILb1ELb0ELi32E19rocblas_complex_numIfEPKS1_PS1_EvbiiT2_T3_lllS6_lllT4_llli,"axG",@progbits,_ZL24rocblas_symm_hemm_kernelILb1ELb0ELi32E19rocblas_complex_numIfEPKS1_PS1_EvbiiT2_T3_lllS6_lllT4_llli,comdat
.Lfunc_end26:
	.size	_ZL24rocblas_symm_hemm_kernelILb1ELb0ELi32E19rocblas_complex_numIfEPKS1_PS1_EvbiiT2_T3_lllS6_lllT4_llli, .Lfunc_end26-_ZL24rocblas_symm_hemm_kernelILb1ELb0ELi32E19rocblas_complex_numIfEPKS1_PS1_EvbiiT2_T3_lllS6_lllT4_llli
                                        ; -- End function
	.set _ZL24rocblas_symm_hemm_kernelILb1ELb0ELi32E19rocblas_complex_numIfEPKS1_PS1_EvbiiT2_T3_lllS6_lllT4_llli.num_vgpr, 50
	.set _ZL24rocblas_symm_hemm_kernelILb1ELb0ELi32E19rocblas_complex_numIfEPKS1_PS1_EvbiiT2_T3_lllS6_lllT4_llli.num_agpr, 0
	.set _ZL24rocblas_symm_hemm_kernelILb1ELb0ELi32E19rocblas_complex_numIfEPKS1_PS1_EvbiiT2_T3_lllS6_lllT4_llli.numbered_sgpr, 42
	.set _ZL24rocblas_symm_hemm_kernelILb1ELb0ELi32E19rocblas_complex_numIfEPKS1_PS1_EvbiiT2_T3_lllS6_lllT4_llli.num_named_barrier, 0
	.set _ZL24rocblas_symm_hemm_kernelILb1ELb0ELi32E19rocblas_complex_numIfEPKS1_PS1_EvbiiT2_T3_lllS6_lllT4_llli.private_seg_size, 0
	.set _ZL24rocblas_symm_hemm_kernelILb1ELb0ELi32E19rocblas_complex_numIfEPKS1_PS1_EvbiiT2_T3_lllS6_lllT4_llli.uses_vcc, 1
	.set _ZL24rocblas_symm_hemm_kernelILb1ELb0ELi32E19rocblas_complex_numIfEPKS1_PS1_EvbiiT2_T3_lllS6_lllT4_llli.uses_flat_scratch, 0
	.set _ZL24rocblas_symm_hemm_kernelILb1ELb0ELi32E19rocblas_complex_numIfEPKS1_PS1_EvbiiT2_T3_lllS6_lllT4_llli.has_dyn_sized_stack, 0
	.set _ZL24rocblas_symm_hemm_kernelILb1ELb0ELi32E19rocblas_complex_numIfEPKS1_PS1_EvbiiT2_T3_lllS6_lllT4_llli.has_recursion, 0
	.set _ZL24rocblas_symm_hemm_kernelILb1ELb0ELi32E19rocblas_complex_numIfEPKS1_PS1_EvbiiT2_T3_lllS6_lllT4_llli.has_indirect_call, 0
	.section	.AMDGPU.csdata,"",@progbits
; Kernel info:
; codeLenInByte = 2784
; TotalNumSgprs: 44
; NumVgprs: 50
; ScratchSize: 0
; MemoryBound: 0
; FloatMode: 240
; IeeeMode: 1
; LDSByteSize: 16384 bytes/workgroup (compile time only)
; SGPRBlocks: 0
; VGPRBlocks: 6
; NumSGPRsForWavesPerEU: 44
; NumVGPRsForWavesPerEU: 50
; Occupancy: 16
; WaveLimiterHint : 0
; COMPUTE_PGM_RSRC2:SCRATCH_EN: 0
; COMPUTE_PGM_RSRC2:USER_SGPR: 2
; COMPUTE_PGM_RSRC2:TRAP_HANDLER: 0
; COMPUTE_PGM_RSRC2:TGID_X_EN: 1
; COMPUTE_PGM_RSRC2:TGID_Y_EN: 1
; COMPUTE_PGM_RSRC2:TGID_Z_EN: 1
; COMPUTE_PGM_RSRC2:TIDIG_COMP_CNT: 1
	.section	.text._ZL24rocblas_symm_hemm_kernelILb1ELb1ELi32E19rocblas_complex_numIfEPKS1_PS1_EvbiiT2_T3_lllS6_lllT4_llli,"axG",@progbits,_ZL24rocblas_symm_hemm_kernelILb1ELb1ELi32E19rocblas_complex_numIfEPKS1_PS1_EvbiiT2_T3_lllS6_lllT4_llli,comdat
	.globl	_ZL24rocblas_symm_hemm_kernelILb1ELb1ELi32E19rocblas_complex_numIfEPKS1_PS1_EvbiiT2_T3_lllS6_lllT4_llli ; -- Begin function _ZL24rocblas_symm_hemm_kernelILb1ELb1ELi32E19rocblas_complex_numIfEPKS1_PS1_EvbiiT2_T3_lllS6_lllT4_llli
	.p2align	8
	.type	_ZL24rocblas_symm_hemm_kernelILb1ELb1ELi32E19rocblas_complex_numIfEPKS1_PS1_EvbiiT2_T3_lllS6_lllT4_llli,@function
_ZL24rocblas_symm_hemm_kernelILb1ELb1ELi32E19rocblas_complex_numIfEPKS1_PS1_EvbiiT2_T3_lllS6_lllT4_llli: ; @_ZL24rocblas_symm_hemm_kernelILb1ELb1ELi32E19rocblas_complex_numIfEPKS1_PS1_EvbiiT2_T3_lllS6_lllT4_llli
; %bb.0:
	s_clause 0x1
	s_load_b128 s[28:31], s[0:1], 0x0
	s_load_b32 s33, s[0:1], 0x10
	s_wait_kmcnt 0x0
	s_cmp_eq_f32 s31, 0
	s_cselect_b32 s2, -1, 0
	s_cmp_eq_f32 s33, 0
	s_cselect_b32 s3, -1, 0
	s_delay_alu instid0(SALU_CYCLE_1) | instskip(NEXT) | instid1(SALU_CYCLE_1)
	s_and_b32 s2, s2, s3
	s_and_b32 vcc_lo, exec_lo, s2
	s_cbranch_vccnz .LBB27_24
; %bb.1:
	s_load_b32 s36, s[0:1], 0x78
	s_lshr_b32 s34, ttmp7, 16
	s_wait_kmcnt 0x0
	s_cmp_ge_u32 s34, s36
	s_cbranch_scc1 .LBB27_24
; %bb.2:
	s_clause 0x1
	s_load_b512 s[4:19], s[0:1], 0x18
	s_load_b256 s[20:27], s[0:1], 0x58
	v_and_b32_e32 v10, 0x3ff, v0
	v_bfe_u32 v11, v0, 10, 10
	s_delay_alu instid0(VALU_DEP_2) | instskip(NEXT) | instid1(VALU_DEP_2)
	v_lshl_add_u32 v0, ttmp9, 5, v10
	v_lshlrev_b32_e32 v2, 3, v11
	v_lshlrev_b32_e32 v12, 8, v10
	s_delay_alu instid0(VALU_DEP_3) | instskip(SKIP_1) | instid1(VALU_DEP_4)
	v_ashrrev_i32_e32 v1, 31, v0
	v_cmp_gt_i32_e64 s2, s29, v0
	v_or_b32_e32 v13, 0x2000, v2
	s_delay_alu instid0(VALU_DEP_4) | instskip(NEXT) | instid1(VALU_DEP_4)
	v_add_nc_u32_e32 v14, v12, v2
	v_lshlrev_b64_e32 v[0:1], 3, v[0:1]
	s_delay_alu instid0(VALU_DEP_3)
	v_add_nc_u32_e32 v15, v13, v12
	s_wait_kmcnt 0x0
	s_lshl_b64 s[6:7], s[6:7], 3
	s_bitcmp1_b32 s28, 0
	v_add_nc_u32_e32 v21, 0x800, v13
	s_cselect_b32 s3, -1, 0
	s_lshl_b64 s[28:29], s[14:15], 3
	s_add_co_i32 s15, s30, -1
	s_and_b32 s14, ttmp7, 0xffff
	s_ashr_i32 s35, s15, 31
	s_lshl_b64 s[22:23], s[22:23], 3
	s_lshr_b32 s35, s35, 27
	s_wait_alu 0xfffe
	s_add_nc_u64 s[12:13], s[12:13], s[28:29]
	s_add_co_i32 s15, s15, s35
	v_lshl_add_u32 v2, s14, 5, v11
	s_add_nc_u64 s[22:23], s[20:21], s[22:23]
	v_add_co_u32 v16, vcc_lo, s12, v0
	s_ashr_i32 s15, s15, 5
	v_add_co_ci_u32_e64 v17, null, s13, v1, vcc_lo
	v_add_co_u32 v18, vcc_lo, s22, v0
	s_wait_alu 0xfffe
	s_cmp_le_i32 s14, s15
	s_wait_alu 0xfffd
	v_add_co_ci_u32_e64 v19, null, s23, v1, vcc_lo
	v_sub_nc_u32_e32 v20, 0, v2
	v_add_nc_u32_e32 v22, 0x1000, v13
	v_add_nc_u32_e32 v23, 0x1800, v13
	s_cselect_b32 s20, -1, 0
	s_cmp_gt_i32 s30, 0
	s_add_nc_u64 s[4:5], s[4:5], s[6:7]
	s_cselect_b32 s21, -1, 0
	s_mov_b32 s35, 0
	s_add_nc_u64 s[6:7], s[0:1], 0x80
	s_branch .LBB27_4
.LBB27_3:                               ;   in Loop: Header=BB27_4 Depth=1
	s_add_co_i32 s34, s34, 0x10000
	s_delay_alu instid0(SALU_CYCLE_1)
	s_cmp_lt_u32 s34, s36
	s_cbranch_scc0 .LBB27_24
.LBB27_4:                               ; =>This Loop Header: Depth=1
                                        ;     Child Loop BB27_7 Depth 2
                                        ;       Child Loop BB27_10 Depth 3
	s_and_not1_b32 vcc_lo, exec_lo, s20
	s_wait_alu 0xfffe
	s_cbranch_vccnz .LBB27_3
; %bb.5:                                ;   in Loop: Header=BB27_4 Depth=1
	s_load_b32 s1, s[6:7], 0x4
	s_mul_u64 s[28:29], s[18:19], s[34:35]
	s_mul_u64 s[22:23], s[26:27], s[34:35]
	s_wait_alu 0xfffe
	s_lshl_b64 s[28:29], s[28:29], 3
	s_lshl_b64 s[22:23], s[22:23], 3
	s_wait_alu 0xfffe
	v_add_co_u32 v25, vcc_lo, v16, s28
	s_wait_alu 0xfffd
	v_add_co_ci_u32_e64 v26, null, s29, v17, vcc_lo
	v_add_co_u32 v27, vcc_lo, v18, s22
	s_mul_u64 s[12:13], s[10:11], s[34:35]
	v_mov_b32_e32 v24, v20
	s_wait_alu 0xfffd
	v_add_co_ci_u32_e64 v28, null, s23, v19, vcc_lo
	s_wait_alu 0xfffe
	s_lshl_b64 s[12:13], s[12:13], 3
	s_mov_b32 s23, s14
	s_wait_alu 0xfffe
	s_add_nc_u64 s[12:13], s[4:5], s[12:13]
	s_wait_kmcnt 0x0
	s_lshl_b32 s22, s1, 5
	s_branch .LBB27_7
.LBB27_6:                               ;   in Loop: Header=BB27_7 Depth=2
	v_subrev_nc_u32_e32 v24, s22, v24
	s_add_co_i32 s23, s23, s1
	s_wait_alu 0xfffe
	s_cmp_gt_i32 s23, s15
	s_cbranch_scc1 .LBB27_3
.LBB27_7:                               ;   Parent Loop BB27_4 Depth=1
                                        ; =>  This Loop Header: Depth=2
                                        ;       Child Loop BB27_10 Depth 3
	s_and_not1_b32 vcc_lo, exec_lo, s21
	s_wait_alu 0xfffe
	s_cbranch_vccnz .LBB27_6
; %bb.8:                                ;   in Loop: Header=BB27_7 Depth=2
	v_lshl_add_u32 v0, s23, 5, v11
	v_add_nc_u32_e32 v33, v10, v24
	s_mov_b32 s29, 0
	s_delay_alu instid0(VALU_DEP_2) | instskip(SKIP_3) | instid1(VALU_DEP_4)
	v_ashrrev_i32_e32 v1, 31, v0
	v_mul_lo_u32 v6, s9, v0
	v_mad_co_u64_u32 v[2:3], null, s8, v0, 0
	v_mul_lo_u32 v8, s25, v0
	v_mul_lo_u32 v7, s8, v1
	v_mad_co_u64_u32 v[4:5], null, s24, v0, 0
	v_mul_lo_u32 v9, s24, v1
	v_cmp_gt_i32_e32 vcc_lo, s30, v0
	s_delay_alu instid0(VALU_DEP_4) | instskip(SKIP_2) | instid1(VALU_DEP_4)
	v_add3_u32 v3, v3, v7, v6
	v_lshlrev_b64_e32 v[6:7], 3, v[0:1]
	s_and_b32 s28, s2, vcc_lo
	v_add3_u32 v5, v5, v9, v8
	s_delay_alu instid0(VALU_DEP_3) | instskip(NEXT) | instid1(VALU_DEP_3)
	v_lshlrev_b64_e32 v[1:2], 3, v[2:3]
	v_add_co_u32 v29, s0, s12, v6
	s_delay_alu instid0(VALU_DEP_3) | instskip(SKIP_2) | instid1(VALU_DEP_4)
	v_lshlrev_b64_e32 v[3:4], 3, v[4:5]
	s_wait_alu 0xf1ff
	v_add_co_ci_u32_e64 v30, null, s13, v7, s0
	v_add_co_u32 v31, s0, s12, v1
	s_wait_alu 0xf1ff
	v_add_co_ci_u32_e64 v32, null, s13, v2, s0
	v_add_co_u32 v1, s0, v27, v3
	;; [unrolled: 3-line block ×3, first 2 shown]
	s_wait_alu 0xf1ff
	v_add_co_ci_u32_e64 v4, null, v32, v7, s0
	s_branch .LBB27_10
.LBB27_9:                               ;   in Loop: Header=BB27_10 Depth=3
	s_wait_alu 0xfffe
	s_or_b32 exec_lo, exec_lo, s0
	s_add_co_i32 s29, s29, 32
	s_wait_loadcnt 0x0
	s_wait_storecnt 0x0
	s_wait_alu 0xfffe
	s_cmp_ge_i32 s29, s30
	s_barrier_signal -1
	s_barrier_wait -1
	global_inv scope:SCOPE_SE
	s_cbranch_scc1 .LBB27_6
.LBB27_10:                              ;   Parent Loop BB27_4 Depth=1
                                        ;     Parent Loop BB27_7 Depth=2
                                        ; =>    This Inner Loop Header: Depth=3
	s_wait_alu 0xfffe
	v_dual_mov_b32 v5, 0 :: v_dual_add_nc_u32 v6, s29, v11
	v_dual_mov_b32 v8, 0 :: v_dual_mov_b32 v9, 0
	s_delay_alu instid0(VALU_DEP_2) | instskip(SKIP_1) | instid1(SALU_CYCLE_1)
	v_cmp_gt_i32_e32 vcc_lo, s30, v6
	s_and_b32 s37, s2, vcc_lo
	s_and_saveexec_b32 s0, s37
	s_cbranch_execz .LBB27_12
; %bb.11:                               ;   in Loop: Header=BB27_10 Depth=3
	v_ashrrev_i32_e32 v8, 31, v6
	v_mul_lo_u32 v9, s17, v6
	v_mad_co_u64_u32 v[6:7], null, s16, v6, 0
	s_delay_alu instid0(VALU_DEP_3) | instskip(NEXT) | instid1(VALU_DEP_1)
	v_mul_lo_u32 v8, s16, v8
	v_add3_u32 v7, v7, v8, v9
	s_delay_alu instid0(VALU_DEP_1) | instskip(NEXT) | instid1(VALU_DEP_1)
	v_lshlrev_b64_e32 v[6:7], 3, v[6:7]
	v_add_co_u32 v6, vcc_lo, v25, v6
	s_wait_alu 0xfffd
	s_delay_alu instid0(VALU_DEP_2)
	v_add_co_ci_u32_e64 v7, null, v26, v7, vcc_lo
	global_load_b64 v[8:9], v[6:7], off
.LBB27_12:                              ;   in Loop: Header=BB27_10 Depth=3
	s_wait_alu 0xfffe
	s_or_b32 exec_lo, exec_lo, s0
	v_add_nc_u32_e32 v7, s29, v10
	s_mov_b32 s37, exec_lo
	s_wait_loadcnt 0x0
	ds_store_b64 v14, v[8:9]
	v_cndmask_b32_e64 v6, v0, v7, s3
	v_cndmask_b32_e64 v34, v7, v0, s3
	s_delay_alu instid0(VALU_DEP_1) | instskip(SKIP_4) | instid1(VALU_DEP_3)
	v_cmp_gt_i32_e32 vcc_lo, v6, v34
	s_wait_alu 0xfffd
	v_dual_cndmask_b32 v35, v7, v0 :: v_dual_cndmask_b32 v36, v0, v7
	v_cmp_le_i32_e32 vcc_lo, v6, v34
	v_mov_b32_e32 v6, 0
	v_max_i32_e32 v35, v35, v36
	s_delay_alu instid0(VALU_DEP_1)
	v_cmpx_gt_i32_e64 s30, v35
	s_cbranch_execz .LBB27_22
; %bb.13:                               ;   in Loop: Header=BB27_10 Depth=3
                                        ; implicit-def: $vgpr6
	s_and_saveexec_b32 s0, vcc_lo
	s_wait_alu 0xfffe
	s_xor_b32 s0, exec_lo, s0
	s_cbranch_execz .LBB27_19
; %bb.14:                               ;   in Loop: Header=BB27_10 Depth=3
	v_add_nc_u32_e32 v5, s29, v33
	s_delay_alu instid0(VALU_DEP_1) | instskip(SKIP_1) | instid1(SALU_CYCLE_1)
	v_cmp_ne_u32_e32 vcc_lo, 0, v5
                                        ; implicit-def: $vgpr6
	s_and_saveexec_b32 s38, vcc_lo
	s_xor_b32 s38, exec_lo, s38
	s_cbranch_execz .LBB27_16
; %bb.15:                               ;   in Loop: Header=BB27_10 Depth=3
	v_ashrrev_i32_e32 v8, 31, v7
	s_delay_alu instid0(VALU_DEP_1) | instskip(NEXT) | instid1(VALU_DEP_1)
	v_lshlrev_b64_e32 v[5:6], 3, v[7:8]
	v_add_co_u32 v5, vcc_lo, v31, v5
	s_wait_alu 0xfffd
	s_delay_alu instid0(VALU_DEP_2)
	v_add_co_ci_u32_e64 v6, null, v32, v6, vcc_lo
	global_load_b64 v[5:6], v[5:6], off
.LBB27_16:                              ;   in Loop: Header=BB27_10 Depth=3
	s_and_not1_saveexec_b32 s38, s38
	s_cbranch_execz .LBB27_18
; %bb.17:                               ;   in Loop: Header=BB27_10 Depth=3
	s_wait_loadcnt 0x0
	global_load_b32 v5, v[3:4], off
	v_mov_b32_e32 v6, 0
.LBB27_18:                              ;   in Loop: Header=BB27_10 Depth=3
	s_or_b32 exec_lo, exec_lo, s38
                                        ; implicit-def: $vgpr7
.LBB27_19:                              ;   in Loop: Header=BB27_10 Depth=3
	s_wait_alu 0xfffe
	s_and_not1_saveexec_b32 s0, s0
	s_cbranch_execz .LBB27_21
; %bb.20:                               ;   in Loop: Header=BB27_10 Depth=3
	v_ashrrev_i32_e32 v8, 31, v7
	v_mul_lo_u32 v9, s9, v7
	s_wait_loadcnt 0x0
	v_mad_co_u64_u32 v[5:6], null, s8, v7, 0
	s_delay_alu instid0(VALU_DEP_3) | instskip(NEXT) | instid1(VALU_DEP_1)
	v_mul_lo_u32 v7, s8, v8
	v_add3_u32 v6, v6, v7, v9
	s_delay_alu instid0(VALU_DEP_1) | instskip(NEXT) | instid1(VALU_DEP_1)
	v_lshlrev_b64_e32 v[5:6], 3, v[5:6]
	v_add_co_u32 v5, vcc_lo, v29, v5
	s_wait_alu 0xfffd
	s_delay_alu instid0(VALU_DEP_2)
	v_add_co_ci_u32_e64 v6, null, v30, v6, vcc_lo
	global_load_b64 v[5:6], v[5:6], off
	s_wait_loadcnt 0x0
	v_xor_b32_e32 v6, 0x80000000, v6
.LBB27_21:                              ;   in Loop: Header=BB27_10 Depth=3
	s_wait_alu 0xfffe
	s_or_b32 exec_lo, exec_lo, s0
.LBB27_22:                              ;   in Loop: Header=BB27_10 Depth=3
	s_delay_alu instid0(SALU_CYCLE_1)
	s_or_b32 exec_lo, exec_lo, s37
	s_wait_loadcnt 0x0
	ds_store_b64 v15, v[5:6]
	s_wait_dscnt 0x0
	s_barrier_signal -1
	s_barrier_wait -1
	global_inv scope:SCOPE_SE
	s_and_saveexec_b32 s0, s28
	s_cbranch_execz .LBB27_9
; %bb.23:                               ;   in Loop: Header=BB27_10 Depth=3
	ds_load_b128 v[5:8], v12
	ds_load_b128 v[34:37], v12 offset:16
	ds_load_b128 v[38:41], v12 offset:32
	;; [unrolled: 1-line block ×3, first 2 shown]
	ds_load_2addr_b64 v[46:49], v13 offset1:32
	s_wait_dscnt 0x0
	v_mul_f32_e32 v9, v47, v6
	s_delay_alu instid0(VALU_DEP_1) | instskip(SKIP_1) | instid1(VALU_DEP_1)
	v_fma_f32 v9, v46, v5, -v9
	v_mul_f32_e32 v6, v46, v6
	v_fmac_f32_e32 v6, v47, v5
	s_delay_alu instid0(VALU_DEP_3) | instskip(SKIP_2) | instid1(VALU_DEP_2)
	v_add_f32_e32 v5, 0, v9
	v_mul_f32_e32 v9, v49, v8
	v_mul_f32_e32 v8, v48, v8
	v_fma_f32 v9, v48, v7, -v9
	v_add_f32_e32 v6, 0, v6
	s_delay_alu instid0(VALU_DEP_3) | instskip(NEXT) | instid1(VALU_DEP_1)
	v_fmac_f32_e32 v8, v49, v7
	v_dual_add_f32 v9, v5, v9 :: v_dual_add_f32 v46, v6, v8
	ds_load_2addr_b64 v[5:8], v13 offset0:64 offset1:96
	s_wait_dscnt 0x0
	v_mul_f32_e32 v47, v6, v35
	s_delay_alu instid0(VALU_DEP_1) | instskip(SKIP_1) | instid1(VALU_DEP_1)
	v_fma_f32 v47, v5, v34, -v47
	v_mul_f32_e32 v5, v5, v35
	v_dual_fmac_f32 v5, v6, v34 :: v_dual_add_f32 v6, v9, v47
	s_delay_alu instid0(VALU_DEP_1) | instskip(SKIP_1) | instid1(VALU_DEP_1)
	v_add_f32_e32 v5, v46, v5
	v_mul_f32_e32 v9, v8, v37
	v_fma_f32 v9, v7, v36, -v9
	s_delay_alu instid0(VALU_DEP_1) | instskip(SKIP_1) | instid1(VALU_DEP_1)
	v_add_f32_e32 v9, v6, v9
	v_mul_f32_e32 v7, v7, v37
	v_fmac_f32_e32 v7, v8, v36
	s_delay_alu instid0(VALU_DEP_1) | instskip(SKIP_3) | instid1(VALU_DEP_1)
	v_add_f32_e32 v34, v5, v7
	ds_load_2addr_b64 v[5:8], v13 offset0:128 offset1:160
	s_wait_dscnt 0x0
	v_mul_f32_e32 v35, v6, v39
	v_fma_f32 v35, v5, v38, -v35
	v_mul_f32_e32 v5, v5, v39
	s_delay_alu instid0(VALU_DEP_1) | instskip(SKIP_1) | instid1(VALU_DEP_2)
	v_dual_fmac_f32 v5, v6, v38 :: v_dual_add_f32 v6, v9, v35
	v_mul_f32_e32 v9, v8, v41
	v_add_f32_e32 v5, v34, v5
	s_delay_alu instid0(VALU_DEP_2) | instskip(SKIP_1) | instid1(VALU_DEP_2)
	v_fma_f32 v9, v7, v40, -v9
	v_mul_f32_e32 v7, v7, v41
	v_add_f32_e32 v9, v6, v9
	s_delay_alu instid0(VALU_DEP_2) | instskip(NEXT) | instid1(VALU_DEP_1)
	v_fmac_f32_e32 v7, v8, v40
	v_add_f32_e32 v34, v5, v7
	ds_load_2addr_b64 v[5:8], v13 offset0:192 offset1:224
	s_wait_dscnt 0x0
	v_mul_f32_e32 v35, v6, v43
	s_delay_alu instid0(VALU_DEP_1) | instskip(SKIP_1) | instid1(VALU_DEP_1)
	v_fma_f32 v35, v5, v42, -v35
	v_mul_f32_e32 v5, v5, v43
	v_dual_fmac_f32 v5, v6, v42 :: v_dual_add_f32 v6, v9, v35
	v_mul_f32_e32 v9, v8, v45
	s_delay_alu instid0(VALU_DEP_2) | instskip(NEXT) | instid1(VALU_DEP_2)
	v_add_f32_e32 v5, v34, v5
	v_fma_f32 v9, v7, v44, -v9
	v_mul_f32_e32 v7, v7, v45
	s_delay_alu instid0(VALU_DEP_2) | instskip(NEXT) | instid1(VALU_DEP_2)
	v_add_f32_e32 v9, v6, v9
	v_fmac_f32_e32 v7, v8, v44
	s_delay_alu instid0(VALU_DEP_1)
	v_add_f32_e32 v38, v5, v7
	ds_load_b128 v[5:8], v12 offset:64
	ds_load_2addr_b64 v[34:37], v21 offset1:32
	s_wait_dscnt 0x0
	v_mul_f32_e32 v39, v35, v6
	v_mul_f32_e32 v6, v34, v6
	s_delay_alu instid0(VALU_DEP_2) | instskip(NEXT) | instid1(VALU_DEP_1)
	v_fma_f32 v39, v34, v5, -v39
	v_dual_fmac_f32 v6, v35, v5 :: v_dual_add_f32 v5, v9, v39
	v_mul_f32_e32 v9, v37, v8
	v_mul_f32_e32 v8, v36, v8
	s_delay_alu instid0(VALU_DEP_3) | instskip(NEXT) | instid1(VALU_DEP_3)
	v_add_f32_e32 v6, v38, v6
	v_fma_f32 v9, v36, v7, -v9
	s_delay_alu instid0(VALU_DEP_3) | instskip(NEXT) | instid1(VALU_DEP_1)
	v_fmac_f32_e32 v8, v37, v7
	v_dual_add_f32 v9, v5, v9 :: v_dual_add_f32 v38, v6, v8
	ds_load_b128 v[5:8], v12 offset:80
	ds_load_2addr_b64 v[34:37], v21 offset0:64 offset1:96
	s_wait_dscnt 0x0
	v_mul_f32_e32 v39, v35, v6
	v_mul_f32_e32 v6, v34, v6
	s_delay_alu instid0(VALU_DEP_2) | instskip(NEXT) | instid1(VALU_DEP_1)
	v_fma_f32 v39, v34, v5, -v39
	v_dual_fmac_f32 v6, v35, v5 :: v_dual_add_f32 v5, v9, v39
	v_mul_f32_e32 v9, v37, v8
	v_mul_f32_e32 v8, v36, v8
	s_delay_alu instid0(VALU_DEP_3) | instskip(NEXT) | instid1(VALU_DEP_3)
	v_add_f32_e32 v6, v38, v6
	v_fma_f32 v9, v36, v7, -v9
	s_delay_alu instid0(VALU_DEP_3) | instskip(NEXT) | instid1(VALU_DEP_1)
	v_fmac_f32_e32 v8, v37, v7
	v_dual_add_f32 v9, v5, v9 :: v_dual_add_f32 v38, v6, v8
	ds_load_b128 v[5:8], v12 offset:96
	ds_load_2addr_b64 v[34:37], v21 offset0:128 offset1:160
	;; [unrolled: 16-line block ×3, first 2 shown]
	s_wait_dscnt 0x0
	v_mul_f32_e32 v39, v35, v6
	v_mul_f32_e32 v6, v34, v6
	s_delay_alu instid0(VALU_DEP_2) | instskip(NEXT) | instid1(VALU_DEP_1)
	v_fma_f32 v39, v34, v5, -v39
	v_dual_fmac_f32 v6, v35, v5 :: v_dual_add_f32 v5, v9, v39
	v_mul_f32_e32 v9, v37, v8
	v_mul_f32_e32 v8, v36, v8
	s_delay_alu instid0(VALU_DEP_3) | instskip(NEXT) | instid1(VALU_DEP_3)
	v_add_f32_e32 v6, v38, v6
	v_fma_f32 v9, v36, v7, -v9
	s_delay_alu instid0(VALU_DEP_3) | instskip(NEXT) | instid1(VALU_DEP_1)
	v_fmac_f32_e32 v8, v37, v7
	v_dual_add_f32 v9, v5, v9 :: v_dual_add_f32 v38, v6, v8
	ds_load_b128 v[5:8], v12 offset:128
	ds_load_2addr_b64 v[34:37], v22 offset1:32
	s_wait_dscnt 0x0
	v_mul_f32_e32 v39, v35, v6
	v_mul_f32_e32 v6, v34, v6
	s_delay_alu instid0(VALU_DEP_2) | instskip(NEXT) | instid1(VALU_DEP_1)
	v_fma_f32 v39, v34, v5, -v39
	v_dual_fmac_f32 v6, v35, v5 :: v_dual_add_f32 v5, v9, v39
	v_mul_f32_e32 v9, v37, v8
	v_mul_f32_e32 v8, v36, v8
	s_delay_alu instid0(VALU_DEP_3) | instskip(NEXT) | instid1(VALU_DEP_3)
	v_add_f32_e32 v6, v38, v6
	v_fma_f32 v9, v36, v7, -v9
	s_delay_alu instid0(VALU_DEP_3) | instskip(NEXT) | instid1(VALU_DEP_1)
	v_fmac_f32_e32 v8, v37, v7
	v_dual_add_f32 v9, v5, v9 :: v_dual_add_f32 v38, v6, v8
	ds_load_b128 v[5:8], v12 offset:144
	ds_load_2addr_b64 v[34:37], v22 offset0:64 offset1:96
	s_wait_dscnt 0x0
	v_mul_f32_e32 v39, v35, v6
	v_mul_f32_e32 v6, v34, v6
	s_delay_alu instid0(VALU_DEP_2) | instskip(NEXT) | instid1(VALU_DEP_1)
	v_fma_f32 v39, v34, v5, -v39
	v_dual_fmac_f32 v6, v35, v5 :: v_dual_add_f32 v5, v9, v39
	v_mul_f32_e32 v9, v37, v8
	v_mul_f32_e32 v8, v36, v8
	s_delay_alu instid0(VALU_DEP_3) | instskip(NEXT) | instid1(VALU_DEP_3)
	v_add_f32_e32 v6, v38, v6
	v_fma_f32 v9, v36, v7, -v9
	s_delay_alu instid0(VALU_DEP_3) | instskip(NEXT) | instid1(VALU_DEP_1)
	v_fmac_f32_e32 v8, v37, v7
	v_dual_add_f32 v9, v5, v9 :: v_dual_add_f32 v38, v6, v8
	ds_load_b128 v[5:8], v12 offset:160
	ds_load_2addr_b64 v[34:37], v22 offset0:128 offset1:160
	s_wait_dscnt 0x0
	v_mul_f32_e32 v39, v35, v6
	v_mul_f32_e32 v6, v34, v6
	s_delay_alu instid0(VALU_DEP_2) | instskip(NEXT) | instid1(VALU_DEP_2)
	v_fma_f32 v39, v34, v5, -v39
	v_fmac_f32_e32 v6, v35, v5
	s_delay_alu instid0(VALU_DEP_1) | instskip(SKIP_2) | instid1(VALU_DEP_2)
	v_dual_add_f32 v6, v38, v6 :: v_dual_add_f32 v5, v9, v39
	v_mul_f32_e32 v9, v37, v8
	v_mul_f32_e32 v8, v36, v8
	v_fma_f32 v9, v36, v7, -v9
	s_delay_alu instid0(VALU_DEP_2) | instskip(NEXT) | instid1(VALU_DEP_1)
	v_fmac_f32_e32 v8, v37, v7
	v_dual_add_f32 v38, v6, v8 :: v_dual_add_f32 v9, v5, v9
	ds_load_b128 v[5:8], v12 offset:176
	ds_load_2addr_b64 v[34:37], v22 offset0:192 offset1:224
	s_wait_dscnt 0x0
	v_mul_f32_e32 v39, v35, v6
	v_mul_f32_e32 v6, v34, v6
	s_delay_alu instid0(VALU_DEP_2) | instskip(NEXT) | instid1(VALU_DEP_2)
	v_fma_f32 v39, v34, v5, -v39
	v_fmac_f32_e32 v6, v35, v5
	s_delay_alu instid0(VALU_DEP_1) | instskip(SKIP_2) | instid1(VALU_DEP_2)
	v_dual_add_f32 v6, v38, v6 :: v_dual_add_f32 v5, v9, v39
	v_mul_f32_e32 v9, v37, v8
	v_mul_f32_e32 v8, v36, v8
	v_fma_f32 v9, v36, v7, -v9
	s_delay_alu instid0(VALU_DEP_2) | instskip(NEXT) | instid1(VALU_DEP_1)
	v_fmac_f32_e32 v8, v37, v7
	v_dual_add_f32 v9, v5, v9 :: v_dual_add_f32 v38, v6, v8
	ds_load_b128 v[5:8], v12 offset:192
	ds_load_2addr_b64 v[34:37], v23 offset1:32
	s_wait_dscnt 0x0
	v_mul_f32_e32 v39, v35, v6
	v_mul_f32_e32 v6, v34, v6
	s_delay_alu instid0(VALU_DEP_2) | instskip(NEXT) | instid1(VALU_DEP_1)
	v_fma_f32 v39, v34, v5, -v39
	v_dual_fmac_f32 v6, v35, v5 :: v_dual_add_f32 v5, v9, v39
	s_delay_alu instid0(VALU_DEP_1) | instskip(NEXT) | instid1(VALU_DEP_1)
	v_dual_add_f32 v6, v38, v6 :: v_dual_mul_f32 v9, v37, v8
	v_fma_f32 v9, v36, v7, -v9
	s_delay_alu instid0(VALU_DEP_1) | instskip(NEXT) | instid1(VALU_DEP_1)
	v_dual_mul_f32 v8, v36, v8 :: v_dual_add_f32 v9, v5, v9
	v_fmac_f32_e32 v8, v37, v7
	s_delay_alu instid0(VALU_DEP_1)
	v_add_f32_e32 v38, v6, v8
	ds_load_b128 v[5:8], v12 offset:208
	ds_load_2addr_b64 v[34:37], v23 offset0:64 offset1:96
	s_wait_dscnt 0x0
	v_mul_f32_e32 v39, v35, v6
	v_mul_f32_e32 v6, v34, v6
	s_delay_alu instid0(VALU_DEP_2) | instskip(NEXT) | instid1(VALU_DEP_1)
	v_fma_f32 v39, v34, v5, -v39
	v_dual_fmac_f32 v6, v35, v5 :: v_dual_add_f32 v5, v9, v39
	v_mul_f32_e32 v9, v37, v8
	v_mul_f32_e32 v8, v36, v8
	s_delay_alu instid0(VALU_DEP_2) | instskip(NEXT) | instid1(VALU_DEP_4)
	v_fma_f32 v9, v36, v7, -v9
	v_add_f32_e32 v6, v38, v6
	s_delay_alu instid0(VALU_DEP_3) | instskip(NEXT) | instid1(VALU_DEP_1)
	v_fmac_f32_e32 v8, v37, v7
	v_dual_add_f32 v9, v5, v9 :: v_dual_add_f32 v38, v6, v8
	ds_load_b128 v[5:8], v12 offset:224
	ds_load_2addr_b64 v[34:37], v23 offset0:128 offset1:160
	s_wait_dscnt 0x0
	v_mul_f32_e32 v39, v35, v6
	v_mul_f32_e32 v6, v34, v6
	s_delay_alu instid0(VALU_DEP_2) | instskip(NEXT) | instid1(VALU_DEP_1)
	v_fma_f32 v39, v34, v5, -v39
	v_dual_fmac_f32 v6, v35, v5 :: v_dual_add_f32 v5, v9, v39
	v_mul_f32_e32 v9, v37, v8
	v_mul_f32_e32 v8, v36, v8
	s_delay_alu instid0(VALU_DEP_2) | instskip(NEXT) | instid1(VALU_DEP_2)
	v_fma_f32 v9, v36, v7, -v9
	v_fmac_f32_e32 v8, v37, v7
	s_delay_alu instid0(VALU_DEP_2) | instskip(NEXT) | instid1(VALU_DEP_1)
	v_dual_add_f32 v9, v5, v9 :: v_dual_add_f32 v6, v38, v6
	v_add_f32_e32 v38, v6, v8
	ds_load_b128 v[5:8], v12 offset:240
	ds_load_2addr_b64 v[34:37], v23 offset0:192 offset1:224
	s_wait_dscnt 0x0
	v_mul_f32_e32 v39, v35, v6
	v_mul_f32_e32 v6, v34, v6
	s_delay_alu instid0(VALU_DEP_2) | instskip(NEXT) | instid1(VALU_DEP_1)
	v_fma_f32 v39, v34, v5, -v39
	v_dual_fmac_f32 v6, v35, v5 :: v_dual_add_f32 v5, v9, v39
	v_mul_f32_e32 v9, v37, v8
	v_mul_f32_e32 v8, v36, v8
	s_delay_alu instid0(VALU_DEP_3) | instskip(NEXT) | instid1(VALU_DEP_3)
	v_add_f32_e32 v6, v38, v6
	v_fma_f32 v9, v36, v7, -v9
	s_delay_alu instid0(VALU_DEP_3) | instskip(NEXT) | instid1(VALU_DEP_1)
	v_fmac_f32_e32 v8, v37, v7
	v_dual_add_f32 v7, v5, v9 :: v_dual_add_f32 v8, v6, v8
	s_delay_alu instid0(VALU_DEP_1) | instskip(NEXT) | instid1(VALU_DEP_1)
	v_dual_mul_f32 v6, s33, v7 :: v_dual_mul_f32 v5, s33, v8
	v_fmac_f32_e32 v6, s31, v8
	s_delay_alu instid0(VALU_DEP_2)
	v_fma_f32 v5, s31, v7, -v5
	global_load_b64 v[7:8], v[1:2], off
	s_wait_loadcnt 0x0
	v_dual_add_f32 v5, v7, v5 :: v_dual_add_f32 v6, v8, v6
	global_store_b64 v[1:2], v[5:6], off
	s_branch .LBB27_9
.LBB27_24:
	s_endpgm
	.section	.rodata,"a",@progbits
	.p2align	6, 0x0
	.amdhsa_kernel _ZL24rocblas_symm_hemm_kernelILb1ELb1ELi32E19rocblas_complex_numIfEPKS1_PS1_EvbiiT2_T3_lllS6_lllT4_llli
		.amdhsa_group_segment_fixed_size 16384
		.amdhsa_private_segment_fixed_size 0
		.amdhsa_kernarg_size 384
		.amdhsa_user_sgpr_count 2
		.amdhsa_user_sgpr_dispatch_ptr 0
		.amdhsa_user_sgpr_queue_ptr 0
		.amdhsa_user_sgpr_kernarg_segment_ptr 1
		.amdhsa_user_sgpr_dispatch_id 0
		.amdhsa_user_sgpr_private_segment_size 0
		.amdhsa_wavefront_size32 1
		.amdhsa_uses_dynamic_stack 0
		.amdhsa_enable_private_segment 0
		.amdhsa_system_sgpr_workgroup_id_x 1
		.amdhsa_system_sgpr_workgroup_id_y 1
		.amdhsa_system_sgpr_workgroup_id_z 1
		.amdhsa_system_sgpr_workgroup_info 0
		.amdhsa_system_vgpr_workitem_id 1
		.amdhsa_next_free_vgpr 50
		.amdhsa_next_free_sgpr 39
		.amdhsa_reserve_vcc 1
		.amdhsa_float_round_mode_32 0
		.amdhsa_float_round_mode_16_64 0
		.amdhsa_float_denorm_mode_32 3
		.amdhsa_float_denorm_mode_16_64 3
		.amdhsa_fp16_overflow 0
		.amdhsa_workgroup_processor_mode 1
		.amdhsa_memory_ordered 1
		.amdhsa_forward_progress 1
		.amdhsa_inst_pref_size 22
		.amdhsa_round_robin_scheduling 0
		.amdhsa_exception_fp_ieee_invalid_op 0
		.amdhsa_exception_fp_denorm_src 0
		.amdhsa_exception_fp_ieee_div_zero 0
		.amdhsa_exception_fp_ieee_overflow 0
		.amdhsa_exception_fp_ieee_underflow 0
		.amdhsa_exception_fp_ieee_inexact 0
		.amdhsa_exception_int_div_zero 0
	.end_amdhsa_kernel
	.section	.text._ZL24rocblas_symm_hemm_kernelILb1ELb1ELi32E19rocblas_complex_numIfEPKS1_PS1_EvbiiT2_T3_lllS6_lllT4_llli,"axG",@progbits,_ZL24rocblas_symm_hemm_kernelILb1ELb1ELi32E19rocblas_complex_numIfEPKS1_PS1_EvbiiT2_T3_lllS6_lllT4_llli,comdat
.Lfunc_end27:
	.size	_ZL24rocblas_symm_hemm_kernelILb1ELb1ELi32E19rocblas_complex_numIfEPKS1_PS1_EvbiiT2_T3_lllS6_lllT4_llli, .Lfunc_end27-_ZL24rocblas_symm_hemm_kernelILb1ELb1ELi32E19rocblas_complex_numIfEPKS1_PS1_EvbiiT2_T3_lllS6_lllT4_llli
                                        ; -- End function
	.set _ZL24rocblas_symm_hemm_kernelILb1ELb1ELi32E19rocblas_complex_numIfEPKS1_PS1_EvbiiT2_T3_lllS6_lllT4_llli.num_vgpr, 50
	.set _ZL24rocblas_symm_hemm_kernelILb1ELb1ELi32E19rocblas_complex_numIfEPKS1_PS1_EvbiiT2_T3_lllS6_lllT4_llli.num_agpr, 0
	.set _ZL24rocblas_symm_hemm_kernelILb1ELb1ELi32E19rocblas_complex_numIfEPKS1_PS1_EvbiiT2_T3_lllS6_lllT4_llli.numbered_sgpr, 39
	.set _ZL24rocblas_symm_hemm_kernelILb1ELb1ELi32E19rocblas_complex_numIfEPKS1_PS1_EvbiiT2_T3_lllS6_lllT4_llli.num_named_barrier, 0
	.set _ZL24rocblas_symm_hemm_kernelILb1ELb1ELi32E19rocblas_complex_numIfEPKS1_PS1_EvbiiT2_T3_lllS6_lllT4_llli.private_seg_size, 0
	.set _ZL24rocblas_symm_hemm_kernelILb1ELb1ELi32E19rocblas_complex_numIfEPKS1_PS1_EvbiiT2_T3_lllS6_lllT4_llli.uses_vcc, 1
	.set _ZL24rocblas_symm_hemm_kernelILb1ELb1ELi32E19rocblas_complex_numIfEPKS1_PS1_EvbiiT2_T3_lllS6_lllT4_llli.uses_flat_scratch, 0
	.set _ZL24rocblas_symm_hemm_kernelILb1ELb1ELi32E19rocblas_complex_numIfEPKS1_PS1_EvbiiT2_T3_lllS6_lllT4_llli.has_dyn_sized_stack, 0
	.set _ZL24rocblas_symm_hemm_kernelILb1ELb1ELi32E19rocblas_complex_numIfEPKS1_PS1_EvbiiT2_T3_lllS6_lllT4_llli.has_recursion, 0
	.set _ZL24rocblas_symm_hemm_kernelILb1ELb1ELi32E19rocblas_complex_numIfEPKS1_PS1_EvbiiT2_T3_lllS6_lllT4_llli.has_indirect_call, 0
	.section	.AMDGPU.csdata,"",@progbits
; Kernel info:
; codeLenInByte = 2788
; TotalNumSgprs: 41
; NumVgprs: 50
; ScratchSize: 0
; MemoryBound: 0
; FloatMode: 240
; IeeeMode: 1
; LDSByteSize: 16384 bytes/workgroup (compile time only)
; SGPRBlocks: 0
; VGPRBlocks: 6
; NumSGPRsForWavesPerEU: 41
; NumVGPRsForWavesPerEU: 50
; Occupancy: 16
; WaveLimiterHint : 0
; COMPUTE_PGM_RSRC2:SCRATCH_EN: 0
; COMPUTE_PGM_RSRC2:USER_SGPR: 2
; COMPUTE_PGM_RSRC2:TRAP_HANDLER: 0
; COMPUTE_PGM_RSRC2:TGID_X_EN: 1
; COMPUTE_PGM_RSRC2:TGID_Y_EN: 1
; COMPUTE_PGM_RSRC2:TGID_Z_EN: 1
; COMPUTE_PGM_RSRC2:TIDIG_COMP_CNT: 1
	.section	.text._ZL24rocblas_symm_hemm_kernelILb1ELb0ELi32EPK19rocblas_complex_numIdES3_PS1_EvbiiT2_T3_lllS6_lllT4_llli,"axG",@progbits,_ZL24rocblas_symm_hemm_kernelILb1ELb0ELi32EPK19rocblas_complex_numIdES3_PS1_EvbiiT2_T3_lllS6_lllT4_llli,comdat
	.globl	_ZL24rocblas_symm_hemm_kernelILb1ELb0ELi32EPK19rocblas_complex_numIdES3_PS1_EvbiiT2_T3_lllS6_lllT4_llli ; -- Begin function _ZL24rocblas_symm_hemm_kernelILb1ELb0ELi32EPK19rocblas_complex_numIdES3_PS1_EvbiiT2_T3_lllS6_lllT4_llli
	.p2align	8
	.type	_ZL24rocblas_symm_hemm_kernelILb1ELb0ELi32EPK19rocblas_complex_numIdES3_PS1_EvbiiT2_T3_lllS6_lllT4_llli,@function
_ZL24rocblas_symm_hemm_kernelILb1ELb0ELi32EPK19rocblas_complex_numIdES3_PS1_EvbiiT2_T3_lllS6_lllT4_llli: ; @_ZL24rocblas_symm_hemm_kernelILb1ELb0ELi32EPK19rocblas_complex_numIdES3_PS1_EvbiiT2_T3_lllS6_lllT4_llli
; %bb.0:
	s_load_b512 s[4:19], s[0:1], 0x10
	s_wait_kmcnt 0x0
	s_load_b128 s[28:31], s[4:5], 0x0
	s_wait_kmcnt 0x0
	v_cmp_eq_f64_e64 s2, s[28:29], 0
	v_cmp_eq_f64_e64 s3, s[30:31], 0
	s_and_b32 s2, s2, s3
	s_delay_alu instid0(SALU_CYCLE_1)
	s_and_b32 vcc_lo, exec_lo, s2
	s_cbranch_vccnz .LBB28_26
; %bb.1:
	s_load_b32 s33, s[0:1], 0x78
	s_lshr_b32 s4, ttmp7, 16
	s_wait_kmcnt 0x0
	s_cmp_ge_u32 s4, s33
	s_cbranch_scc1 .LBB28_26
; %bb.2:
	s_load_b96 s[36:38], s[0:1], 0x0
	v_and_b32_e32 v19, 0x3ff, v0
	s_load_b256 s[20:27], s[0:1], 0x50
	v_bfe_u32 v20, v0, 10, 10
	s_lshl_b64 s[2:3], s[16:17], 4
	s_lshl_b64 s[16:17], s[8:9], 4
	v_lshl_add_u32 v8, ttmp9, 5, v19
	v_lshlrev_b32_e32 v21, 9, v19
	v_lshlrev_b32_e32 v2, 4, v20
	s_load_b64 s[8:9], s[0:1], 0x70
	s_add_nc_u64 s[14:15], s[14:15], s[2:3]
	v_ashrrev_i32_e32 v9, 31, v8
	v_mul_lo_u32 v3, s11, v8
	v_or_b32_e32 v22, 0x4000, v2
	v_mad_co_u64_u32 v[0:1], null, s10, v8, 0
	v_add_nc_u32_e32 v23, v21, v2
	v_mul_lo_u32 v2, s10, v9
	v_lshlrev_b64_e32 v[9:10], 4, v[8:9]
	v_add_nc_u32_e32 v24, v22, v21
	s_wait_kmcnt 0x0
	s_bitcmp1_b32 s36, 0
	v_cmp_gt_i32_e64 s3, s37, v8
	s_cselect_b32 s2, -1, 0
	s_add_co_i32 s5, s38, -1
	s_add_nc_u64 s[6:7], s[6:7], s[16:17]
	s_ashr_i32 s34, s5, 31
	v_add3_u32 v1, v1, v2, v3
	s_lshr_b32 s36, s34, 27
	s_lshl_b64 s[34:35], s[24:25], 4
	s_wait_alu 0xfffe
	s_add_co_i32 s5, s5, s36
	s_add_nc_u64 s[22:23], s[22:23], s[34:35]
	s_and_b32 s24, ttmp7, 0xffff
	s_ashr_i32 s25, s5, 5
	v_add_co_u32 v25, vcc_lo, s22, v9
	s_cmp_le_i32 s24, s25
	v_lshlrev_b64_e32 v[11:12], 4, v[0:1]
	v_add_co_ci_u32_e64 v26, null, s23, v10, vcc_lo
	s_cselect_b32 s34, -1, 0
	s_cmp_gt_i32 s37, 0
	s_mov_b32 s5, 0
	s_cselect_b32 s35, -1, 0
	s_add_nc_u64 s[16:17], s[0:1], 0x80
	s_branch .LBB28_4
.LBB28_3:                               ;   in Loop: Header=BB28_4 Depth=1
	s_add_co_i32 s4, s4, 0x10000
	s_delay_alu instid0(SALU_CYCLE_1)
	s_cmp_lt_u32 s4, s33
	s_cbranch_scc0 .LBB28_26
.LBB28_4:                               ; =>This Loop Header: Depth=1
                                        ;     Child Loop BB28_7 Depth 2
                                        ;       Child Loop BB28_10 Depth 3
                                        ;         Child Loop BB28_24 Depth 4
	s_and_not1_b32 vcc_lo, exec_lo, s34
	s_wait_alu 0xfffe
	s_cbranch_vccnz .LBB28_3
; %bb.5:                                ;   in Loop: Header=BB28_4 Depth=1
	s_mul_u64 s[22:23], s[12:13], s[4:5]
	s_load_b32 s36, s[16:17], 0x4
	s_lshl_b64 s[22:23], s[22:23], 4
	s_mul_u64 s[40:41], s[8:9], s[4:5]
	s_wait_alu 0xfffe
	s_add_nc_u64 s[22:23], s[6:7], s[22:23]
	s_mul_u64 s[0:1], s[20:21], s[4:5]
	s_wait_alu 0xfffe
	v_add_co_u32 v27, vcc_lo, s22, v9
	s_wait_alu 0xfffd
	v_add_co_ci_u32_e64 v28, null, s23, v10, vcc_lo
	v_add_co_u32 v29, vcc_lo, s22, v11
	s_wait_alu 0xfffd
	v_add_co_ci_u32_e64 v30, null, s23, v12, vcc_lo
	s_lshl_b64 s[22:23], s[40:41], 4
	s_lshl_b64 s[0:1], s[0:1], 4
	s_wait_alu 0xfffe
	v_add_co_u32 v31, vcc_lo, v25, s22
	s_wait_alu 0xfffd
	v_add_co_ci_u32_e64 v32, null, s23, v26, vcc_lo
	v_add_co_u32 v13, vcc_lo, v27, v11
	s_wait_alu 0xfffd
	v_add_co_ci_u32_e64 v14, null, v28, v12, vcc_lo
	s_add_nc_u64 s[22:23], s[14:15], s[0:1]
	s_mov_b32 s39, s24
	s_branch .LBB28_7
.LBB28_6:                               ;   in Loop: Header=BB28_7 Depth=2
	s_wait_kmcnt 0x0
	s_add_co_i32 s39, s39, s36
	s_wait_alu 0xfffe
	s_cmp_gt_i32 s39, s25
	s_cbranch_scc1 .LBB28_3
.LBB28_7:                               ;   Parent Loop BB28_4 Depth=1
                                        ; =>  This Loop Header: Depth=2
                                        ;       Child Loop BB28_10 Depth 3
                                        ;         Child Loop BB28_24 Depth 4
	s_and_not1_b32 vcc_lo, exec_lo, s35
	s_wait_alu 0xfffe
	s_cbranch_vccnz .LBB28_6
; %bb.8:                                ;   in Loop: Header=BB28_7 Depth=2
	v_lshl_add_u32 v4, s39, 5, v20
	s_mov_b32 s41, 0
	s_delay_alu instid0(VALU_DEP_1) | instskip(SKIP_3) | instid1(VALU_DEP_4)
	v_ashrrev_i32_e32 v5, 31, v4
	v_mul_lo_u32 v6, s19, v4
	v_mad_co_u64_u32 v[0:1], null, s18, v4, 0
	v_mul_lo_u32 v15, s27, v4
	v_mul_lo_u32 v7, s18, v5
	v_mad_co_u64_u32 v[2:3], null, s26, v4, 0
	v_mul_lo_u32 v5, s26, v5
	v_cmp_gt_i32_e32 vcc_lo, s38, v4
	s_delay_alu instid0(VALU_DEP_4) | instskip(SKIP_1) | instid1(VALU_DEP_3)
	v_add3_u32 v1, v1, v7, v6
	s_and_b32 s40, s3, vcc_lo
	v_add3_u32 v3, v3, v5, v15
	s_delay_alu instid0(VALU_DEP_2) | instskip(NEXT) | instid1(VALU_DEP_2)
	v_lshlrev_b64_e32 v[0:1], 4, v[0:1]
	v_lshlrev_b64_e32 v[2:3], 4, v[2:3]
	s_delay_alu instid0(VALU_DEP_2) | instskip(SKIP_1) | instid1(VALU_DEP_3)
	v_add_co_u32 v33, s0, s22, v0
	s_wait_alu 0xf1ff
	v_add_co_ci_u32_e64 v34, null, s23, v1, s0
	s_delay_alu instid0(VALU_DEP_3)
	v_add_co_u32 v15, s0, v31, v2
	s_wait_alu 0xf1ff
	v_add_co_ci_u32_e64 v16, null, v32, v3, s0
	s_branch .LBB28_10
.LBB28_9:                               ;   in Loop: Header=BB28_10 Depth=3
	s_wait_alu 0xfffe
	s_or_b32 exec_lo, exec_lo, s0
	s_add_co_i32 s41, s41, 32
	s_wait_loadcnt 0x0
	s_wait_storecnt 0x0
	s_wait_alu 0xfffe
	s_cmp_ge_i32 s41, s37
	s_barrier_signal -1
	s_barrier_wait -1
	global_inv scope:SCOPE_SE
	s_cbranch_scc1 .LBB28_6
.LBB28_10:                              ;   Parent Loop BB28_4 Depth=1
                                        ;     Parent Loop BB28_7 Depth=2
                                        ; =>    This Loop Header: Depth=3
                                        ;         Child Loop BB28_24 Depth 4
	s_wait_alu 0xfffe
	v_add_nc_u32_e32 v2, s41, v20
	v_mov_b32_e32 v6, 0
	s_mov_b32 s42, exec_lo
	v_mov_b32_e32 v7, 0
	s_delay_alu instid0(VALU_DEP_3) | instskip(SKIP_1) | instid1(VALU_DEP_1)
	v_cndmask_b32_e64 v0, v2, v8, s2
	v_cndmask_b32_e64 v1, v8, v2, s2
	v_cmp_gt_i32_e64 s0, v0, v1
	s_wait_alu 0xf1ff
	s_delay_alu instid0(VALU_DEP_1) | instskip(SKIP_4) | instid1(VALU_DEP_4)
	v_cndmask_b32_e64 v3, v8, v2, s0
	v_cndmask_b32_e64 v4, v2, v8, s0
	v_cmp_le_i32_e64 s0, v0, v1
	v_mov_b32_e32 v0, 0
	v_mov_b32_e32 v1, 0
	v_max_i32_e32 v3, v3, v4
	v_mov_b32_e32 v4, 0
	v_mov_b32_e32 v5, 0
	s_delay_alu instid0(VALU_DEP_3)
	v_cmpx_gt_i32_e64 s37, v3
	s_cbranch_execz .LBB28_20
; %bb.11:                               ;   in Loop: Header=BB28_10 Depth=3
                                        ; implicit-def: $vgpr6_vgpr7
	s_and_saveexec_b32 s1, s0
	s_wait_alu 0xfffe
	s_xor_b32 s1, exec_lo, s1
	s_cbranch_execz .LBB28_17
; %bb.12:                               ;   in Loop: Header=BB28_10 Depth=3
	s_mov_b32 s43, exec_lo
                                        ; implicit-def: $vgpr6_vgpr7
	v_cmpx_ne_u32_e64 v8, v2
	s_xor_b32 s43, exec_lo, s43
	s_cbranch_execz .LBB28_14
; %bb.13:                               ;   in Loop: Header=BB28_10 Depth=3
	v_ashrrev_i32_e32 v4, 31, v2
	v_mul_lo_u32 v5, s11, v2
	v_mad_co_u64_u32 v[2:3], null, s10, v2, 0
	s_delay_alu instid0(VALU_DEP_3) | instskip(NEXT) | instid1(VALU_DEP_1)
	v_mul_lo_u32 v4, s10, v4
	v_add3_u32 v3, v3, v4, v5
	s_delay_alu instid0(VALU_DEP_1) | instskip(NEXT) | instid1(VALU_DEP_1)
	v_lshlrev_b64_e32 v[2:3], 4, v[2:3]
	v_add_co_u32 v2, s0, v27, v2
	s_wait_alu 0xf1ff
	s_delay_alu instid0(VALU_DEP_2)
	v_add_co_ci_u32_e64 v3, null, v28, v3, s0
	global_load_b128 v[4:7], v[2:3], off
.LBB28_14:                              ;   in Loop: Header=BB28_10 Depth=3
	s_and_not1_saveexec_b32 s0, s43
	s_cbranch_execz .LBB28_16
; %bb.15:                               ;   in Loop: Header=BB28_10 Depth=3
	s_wait_loadcnt 0x0
	global_load_b64 v[4:5], v[13:14], off
	v_mov_b32_e32 v6, 0
	v_mov_b32_e32 v7, 0
.LBB28_16:                              ;   in Loop: Header=BB28_10 Depth=3
	s_wait_alu 0xfffe
	s_or_b32 exec_lo, exec_lo, s0
                                        ; implicit-def: $vgpr2
.LBB28_17:                              ;   in Loop: Header=BB28_10 Depth=3
	s_wait_alu 0xfffe
	s_and_not1_saveexec_b32 s1, s1
	s_cbranch_execz .LBB28_19
; %bb.18:                               ;   in Loop: Header=BB28_10 Depth=3
	v_ashrrev_i32_e32 v3, 31, v2
	s_delay_alu instid0(VALU_DEP_1) | instskip(NEXT) | instid1(VALU_DEP_1)
	v_lshlrev_b64_e32 v[2:3], 4, v[2:3]
	v_add_co_u32 v2, s0, v29, v2
	s_wait_alu 0xf1ff
	s_delay_alu instid0(VALU_DEP_2)
	v_add_co_ci_u32_e64 v3, null, v30, v3, s0
	s_wait_loadcnt 0x0
	global_load_b128 v[4:7], v[2:3], off
	s_wait_loadcnt 0x0
	v_xor_b32_e32 v7, 0x80000000, v7
.LBB28_19:                              ;   in Loop: Header=BB28_10 Depth=3
	s_wait_alu 0xfffe
	s_or_b32 exec_lo, exec_lo, s1
.LBB28_20:                              ;   in Loop: Header=BB28_10 Depth=3
	s_delay_alu instid0(SALU_CYCLE_1)
	s_or_b32 exec_lo, exec_lo, s42
	v_dual_mov_b32 v2, 0 :: v_dual_add_nc_u32 v17, s41, v19
	v_mov_b32_e32 v3, 0
	s_wait_loadcnt 0x0
	ds_store_b128 v23, v[4:7]
	v_cmp_gt_i32_e64 s0, s37, v17
	s_and_b32 s0, s0, vcc_lo
	s_wait_alu 0xfffe
	s_and_saveexec_b32 s1, s0
	s_cbranch_execz .LBB28_22
; %bb.21:                               ;   in Loop: Header=BB28_10 Depth=3
	v_ashrrev_i32_e32 v18, 31, v17
	s_delay_alu instid0(VALU_DEP_1) | instskip(NEXT) | instid1(VALU_DEP_1)
	v_lshlrev_b64_e32 v[0:1], 4, v[17:18]
	v_add_co_u32 v0, s0, v33, v0
	s_wait_alu 0xf1ff
	s_delay_alu instid0(VALU_DEP_2)
	v_add_co_ci_u32_e64 v1, null, v34, v1, s0
	global_load_b128 v[0:3], v[0:1], off
.LBB28_22:                              ;   in Loop: Header=BB28_10 Depth=3
	s_wait_alu 0xfffe
	s_or_b32 exec_lo, exec_lo, s1
	s_wait_loadcnt 0x0
	ds_store_b128 v24, v[0:3]
	s_wait_dscnt 0x0
	s_barrier_signal -1
	s_barrier_wait -1
	global_inv scope:SCOPE_SE
	s_and_saveexec_b32 s0, s40
	s_cbranch_execz .LBB28_9
; %bb.23:                               ;   in Loop: Header=BB28_10 Depth=3
	v_mov_b32_e32 v0, 0
	v_dual_mov_b32 v1, 0 :: v_dual_mov_b32 v2, 0
	v_dual_mov_b32 v3, 0 :: v_dual_mov_b32 v4, v22
	s_mov_b32 s1, 0
.LBB28_24:                              ;   Parent Loop BB28_4 Depth=1
                                        ;     Parent Loop BB28_7 Depth=2
                                        ;       Parent Loop BB28_10 Depth=3
                                        ; =>      This Inner Loop Header: Depth=4
	s_wait_alu 0xfffe
	v_add_nc_u32_e32 v7, s1, v21
	s_addk_co_i32 s1, 0x80
	ds_load_b128 v[35:38], v4
	ds_load_b128 v[39:42], v7
	ds_load_b128 v[43:46], v4 offset:512
	ds_load_b128 v[47:50], v7 offset:16
	s_wait_alu 0xfffe
	s_cmp_eq_u32 s1, 0x200
	s_wait_dscnt 0x2
	v_mul_f64_e32 v[5:6], v[37:38], v[41:42]
	v_mul_f64_e32 v[17:18], v[35:36], v[41:42]
	s_wait_dscnt 0x0
	v_mul_f64_e32 v[57:58], v[45:46], v[49:50]
	v_mul_f64_e32 v[59:60], v[43:44], v[49:50]
	s_delay_alu instid0(VALU_DEP_4) | instskip(NEXT) | instid1(VALU_DEP_4)
	v_fma_f64 v[5:6], v[35:36], v[39:40], -v[5:6]
	v_fma_f64 v[17:18], v[37:38], v[39:40], v[17:18]
	ds_load_b128 v[35:38], v4 offset:1024
	ds_load_b128 v[39:42], v7 offset:32
	;; [unrolled: 1-line block ×4, first 2 shown]
	v_fma_f64 v[43:44], v[43:44], v[47:48], -v[57:58]
	v_fma_f64 v[45:46], v[45:46], v[47:48], v[59:60]
	s_wait_dscnt 0x2
	v_mul_f64_e32 v[61:62], v[37:38], v[41:42]
	v_mul_f64_e32 v[41:42], v[35:36], v[41:42]
	v_add_f64_e32 v[0:1], v[0:1], v[5:6]
	v_add_f64_e32 v[2:3], v[2:3], v[17:18]
	s_wait_dscnt 0x0
	v_mul_f64_e32 v[5:6], v[51:52], v[55:56]
	v_mul_f64_e32 v[17:18], v[49:50], v[55:56]
	v_fma_f64 v[47:48], v[35:36], v[39:40], -v[61:62]
	v_fma_f64 v[55:56], v[37:38], v[39:40], v[41:42]
	v_add_f64_e32 v[57:58], v[0:1], v[43:44]
	v_add_f64_e32 v[59:60], v[2:3], v[45:46]
	ds_load_b128 v[0:3], v4 offset:2048
	ds_load_b128 v[35:38], v7 offset:64
	;; [unrolled: 1-line block ×4, first 2 shown]
	v_fma_f64 v[5:6], v[49:50], v[53:54], -v[5:6]
	v_fma_f64 v[17:18], v[51:52], v[53:54], v[17:18]
	s_wait_dscnt 0x2
	v_mul_f64_e32 v[61:62], v[2:3], v[37:38]
	v_mul_f64_e32 v[37:38], v[0:1], v[37:38]
	s_wait_dscnt 0x0
	v_mul_f64_e32 v[53:54], v[41:42], v[45:46]
	v_add_f64_e32 v[47:48], v[57:58], v[47:48]
	v_add_f64_e32 v[49:50], v[59:60], v[55:56]
	v_mul_f64_e32 v[55:56], v[39:40], v[45:46]
	v_fma_f64 v[57:58], v[0:1], v[35:36], -v[61:62]
	v_fma_f64 v[59:60], v[2:3], v[35:36], v[37:38]
	v_fma_f64 v[39:40], v[39:40], v[43:44], -v[53:54]
	v_add_f64_e32 v[5:6], v[47:48], v[5:6]
	v_add_f64_e32 v[17:18], v[49:50], v[17:18]
	ds_load_b128 v[0:3], v4 offset:3072
	ds_load_b128 v[35:38], v7 offset:96
	;; [unrolled: 1-line block ×4, first 2 shown]
	v_fma_f64 v[41:42], v[41:42], v[43:44], v[55:56]
	v_add_nc_u32_e32 v4, 0x1000, v4
	s_wait_dscnt 0x2
	v_mul_f64_e32 v[61:62], v[2:3], v[37:38]
	v_mul_f64_e32 v[37:38], v[0:1], v[37:38]
	s_wait_dscnt 0x0
	v_mul_f64_e32 v[43:44], v[47:48], v[51:52]
	v_mul_f64_e32 v[51:52], v[45:46], v[51:52]
	v_add_f64_e32 v[5:6], v[5:6], v[57:58]
	v_add_f64_e32 v[17:18], v[17:18], v[59:60]
	v_fma_f64 v[0:1], v[0:1], v[35:36], -v[61:62]
	v_fma_f64 v[2:3], v[2:3], v[35:36], v[37:38]
	v_fma_f64 v[35:36], v[45:46], v[49:50], -v[43:44]
	v_fma_f64 v[37:38], v[47:48], v[49:50], v[51:52]
	v_add_f64_e32 v[5:6], v[5:6], v[39:40]
	v_add_f64_e32 v[17:18], v[17:18], v[41:42]
	s_delay_alu instid0(VALU_DEP_2) | instskip(NEXT) | instid1(VALU_DEP_2)
	v_add_f64_e32 v[0:1], v[5:6], v[0:1]
	v_add_f64_e32 v[2:3], v[17:18], v[2:3]
	s_delay_alu instid0(VALU_DEP_2) | instskip(NEXT) | instid1(VALU_DEP_2)
	v_add_f64_e32 v[0:1], v[0:1], v[35:36]
	v_add_f64_e32 v[2:3], v[2:3], v[37:38]
	s_cbranch_scc0 .LBB28_24
; %bb.25:                               ;   in Loop: Header=BB28_10 Depth=3
	global_load_b128 v[4:7], v[15:16], off
	v_mul_f64_e32 v[17:18], s[30:31], v[2:3]
	v_mul_f64_e32 v[35:36], s[30:31], v[0:1]
	s_delay_alu instid0(VALU_DEP_2) | instskip(NEXT) | instid1(VALU_DEP_2)
	v_fma_f64 v[0:1], s[28:29], v[0:1], -v[17:18]
	v_fma_f64 v[2:3], s[28:29], v[2:3], v[35:36]
	s_wait_loadcnt 0x0
	s_delay_alu instid0(VALU_DEP_2) | instskip(NEXT) | instid1(VALU_DEP_2)
	v_add_f64_e32 v[0:1], v[0:1], v[4:5]
	v_add_f64_e32 v[2:3], v[2:3], v[6:7]
	global_store_b128 v[15:16], v[0:3], off
	s_branch .LBB28_9
.LBB28_26:
	s_endpgm
	.section	.rodata,"a",@progbits
	.p2align	6, 0x0
	.amdhsa_kernel _ZL24rocblas_symm_hemm_kernelILb1ELb0ELi32EPK19rocblas_complex_numIdES3_PS1_EvbiiT2_T3_lllS6_lllT4_llli
		.amdhsa_group_segment_fixed_size 32768
		.amdhsa_private_segment_fixed_size 0
		.amdhsa_kernarg_size 384
		.amdhsa_user_sgpr_count 2
		.amdhsa_user_sgpr_dispatch_ptr 0
		.amdhsa_user_sgpr_queue_ptr 0
		.amdhsa_user_sgpr_kernarg_segment_ptr 1
		.amdhsa_user_sgpr_dispatch_id 0
		.amdhsa_user_sgpr_private_segment_size 0
		.amdhsa_wavefront_size32 1
		.amdhsa_uses_dynamic_stack 0
		.amdhsa_enable_private_segment 0
		.amdhsa_system_sgpr_workgroup_id_x 1
		.amdhsa_system_sgpr_workgroup_id_y 1
		.amdhsa_system_sgpr_workgroup_id_z 1
		.amdhsa_system_sgpr_workgroup_info 0
		.amdhsa_system_vgpr_workitem_id 1
		.amdhsa_next_free_vgpr 63
		.amdhsa_next_free_sgpr 44
		.amdhsa_reserve_vcc 1
		.amdhsa_float_round_mode_32 0
		.amdhsa_float_round_mode_16_64 0
		.amdhsa_float_denorm_mode_32 3
		.amdhsa_float_denorm_mode_16_64 3
		.amdhsa_fp16_overflow 0
		.amdhsa_workgroup_processor_mode 1
		.amdhsa_memory_ordered 1
		.amdhsa_forward_progress 1
		.amdhsa_inst_pref_size 15
		.amdhsa_round_robin_scheduling 0
		.amdhsa_exception_fp_ieee_invalid_op 0
		.amdhsa_exception_fp_denorm_src 0
		.amdhsa_exception_fp_ieee_div_zero 0
		.amdhsa_exception_fp_ieee_overflow 0
		.amdhsa_exception_fp_ieee_underflow 0
		.amdhsa_exception_fp_ieee_inexact 0
		.amdhsa_exception_int_div_zero 0
	.end_amdhsa_kernel
	.section	.text._ZL24rocblas_symm_hemm_kernelILb1ELb0ELi32EPK19rocblas_complex_numIdES3_PS1_EvbiiT2_T3_lllS6_lllT4_llli,"axG",@progbits,_ZL24rocblas_symm_hemm_kernelILb1ELb0ELi32EPK19rocblas_complex_numIdES3_PS1_EvbiiT2_T3_lllS6_lllT4_llli,comdat
.Lfunc_end28:
	.size	_ZL24rocblas_symm_hemm_kernelILb1ELb0ELi32EPK19rocblas_complex_numIdES3_PS1_EvbiiT2_T3_lllS6_lllT4_llli, .Lfunc_end28-_ZL24rocblas_symm_hemm_kernelILb1ELb0ELi32EPK19rocblas_complex_numIdES3_PS1_EvbiiT2_T3_lllS6_lllT4_llli
                                        ; -- End function
	.set _ZL24rocblas_symm_hemm_kernelILb1ELb0ELi32EPK19rocblas_complex_numIdES3_PS1_EvbiiT2_T3_lllS6_lllT4_llli.num_vgpr, 63
	.set _ZL24rocblas_symm_hemm_kernelILb1ELb0ELi32EPK19rocblas_complex_numIdES3_PS1_EvbiiT2_T3_lllS6_lllT4_llli.num_agpr, 0
	.set _ZL24rocblas_symm_hemm_kernelILb1ELb0ELi32EPK19rocblas_complex_numIdES3_PS1_EvbiiT2_T3_lllS6_lllT4_llli.numbered_sgpr, 44
	.set _ZL24rocblas_symm_hemm_kernelILb1ELb0ELi32EPK19rocblas_complex_numIdES3_PS1_EvbiiT2_T3_lllS6_lllT4_llli.num_named_barrier, 0
	.set _ZL24rocblas_symm_hemm_kernelILb1ELb0ELi32EPK19rocblas_complex_numIdES3_PS1_EvbiiT2_T3_lllS6_lllT4_llli.private_seg_size, 0
	.set _ZL24rocblas_symm_hemm_kernelILb1ELb0ELi32EPK19rocblas_complex_numIdES3_PS1_EvbiiT2_T3_lllS6_lllT4_llli.uses_vcc, 1
	.set _ZL24rocblas_symm_hemm_kernelILb1ELb0ELi32EPK19rocblas_complex_numIdES3_PS1_EvbiiT2_T3_lllS6_lllT4_llli.uses_flat_scratch, 0
	.set _ZL24rocblas_symm_hemm_kernelILb1ELb0ELi32EPK19rocblas_complex_numIdES3_PS1_EvbiiT2_T3_lllS6_lllT4_llli.has_dyn_sized_stack, 0
	.set _ZL24rocblas_symm_hemm_kernelILb1ELb0ELi32EPK19rocblas_complex_numIdES3_PS1_EvbiiT2_T3_lllS6_lllT4_llli.has_recursion, 0
	.set _ZL24rocblas_symm_hemm_kernelILb1ELb0ELi32EPK19rocblas_complex_numIdES3_PS1_EvbiiT2_T3_lllS6_lllT4_llli.has_indirect_call, 0
	.section	.AMDGPU.csdata,"",@progbits
; Kernel info:
; codeLenInByte = 1816
; TotalNumSgprs: 46
; NumVgprs: 63
; ScratchSize: 0
; MemoryBound: 1
; FloatMode: 240
; IeeeMode: 1
; LDSByteSize: 32768 bytes/workgroup (compile time only)
; SGPRBlocks: 0
; VGPRBlocks: 7
; NumSGPRsForWavesPerEU: 46
; NumVGPRsForWavesPerEU: 63
; Occupancy: 16
; WaveLimiterHint : 1
; COMPUTE_PGM_RSRC2:SCRATCH_EN: 0
; COMPUTE_PGM_RSRC2:USER_SGPR: 2
; COMPUTE_PGM_RSRC2:TRAP_HANDLER: 0
; COMPUTE_PGM_RSRC2:TGID_X_EN: 1
; COMPUTE_PGM_RSRC2:TGID_Y_EN: 1
; COMPUTE_PGM_RSRC2:TGID_Z_EN: 1
; COMPUTE_PGM_RSRC2:TIDIG_COMP_CNT: 1
	.section	.text._ZL24rocblas_symm_hemm_kernelILb1ELb1ELi32EPK19rocblas_complex_numIdES3_PS1_EvbiiT2_T3_lllS6_lllT4_llli,"axG",@progbits,_ZL24rocblas_symm_hemm_kernelILb1ELb1ELi32EPK19rocblas_complex_numIdES3_PS1_EvbiiT2_T3_lllS6_lllT4_llli,comdat
	.globl	_ZL24rocblas_symm_hemm_kernelILb1ELb1ELi32EPK19rocblas_complex_numIdES3_PS1_EvbiiT2_T3_lllS6_lllT4_llli ; -- Begin function _ZL24rocblas_symm_hemm_kernelILb1ELb1ELi32EPK19rocblas_complex_numIdES3_PS1_EvbiiT2_T3_lllS6_lllT4_llli
	.p2align	8
	.type	_ZL24rocblas_symm_hemm_kernelILb1ELb1ELi32EPK19rocblas_complex_numIdES3_PS1_EvbiiT2_T3_lllS6_lllT4_llli,@function
_ZL24rocblas_symm_hemm_kernelILb1ELb1ELi32EPK19rocblas_complex_numIdES3_PS1_EvbiiT2_T3_lllS6_lllT4_llli: ; @_ZL24rocblas_symm_hemm_kernelILb1ELb1ELi32EPK19rocblas_complex_numIdES3_PS1_EvbiiT2_T3_lllS6_lllT4_llli
; %bb.0:
	s_load_b512 s[4:19], s[0:1], 0x10
	s_wait_kmcnt 0x0
	s_load_b128 s[28:31], s[4:5], 0x0
	s_wait_kmcnt 0x0
	v_cmp_eq_f64_e64 s2, s[28:29], 0
	v_cmp_eq_f64_e64 s3, s[30:31], 0
	s_and_b32 s2, s2, s3
	s_delay_alu instid0(SALU_CYCLE_1)
	s_and_b32 vcc_lo, exec_lo, s2
	s_cbranch_vccnz .LBB29_26
; %bb.1:
	s_load_b32 s33, s[0:1], 0x78
	s_lshr_b32 s4, ttmp7, 16
	s_wait_kmcnt 0x0
	s_cmp_ge_u32 s4, s33
	s_cbranch_scc1 .LBB29_26
; %bb.2:
	s_clause 0x1
	s_load_b96 s[36:38], s[0:1], 0x0
	s_load_b256 s[20:27], s[0:1], 0x50
	v_and_b32_e32 v15, 0x3ff, v0
	v_bfe_u32 v16, v0, 10, 10
	s_lshl_b64 s[34:35], s[8:9], 4
	s_load_b64 s[8:9], s[0:1], 0x70
	s_add_nc_u64 s[6:7], s[6:7], s[34:35]
	v_lshl_add_u32 v0, ttmp9, 5, v15
	v_lshlrev_b32_e32 v2, 4, v16
	v_lshlrev_b32_e32 v17, 9, v15
	s_delay_alu instid0(VALU_DEP_3) | instskip(NEXT) | instid1(VALU_DEP_3)
	v_ashrrev_i32_e32 v1, 31, v0
	v_or_b32_e32 v18, 0x4000, v2
	s_delay_alu instid0(VALU_DEP_3) | instskip(NEXT) | instid1(VALU_DEP_3)
	v_add_nc_u32_e32 v19, v17, v2
	v_lshlrev_b64_e32 v[1:2], 4, v[0:1]
	s_delay_alu instid0(VALU_DEP_3)
	v_add_nc_u32_e32 v20, v18, v17
	s_wait_kmcnt 0x0
	s_bitcmp1_b32 s36, 0
	v_cmp_gt_i32_e64 s2, s37, v0
	s_cselect_b32 s3, -1, 0
	s_add_co_i32 s5, s38, -1
	s_lshl_b64 s[16:17], s[16:17], 4
	s_ashr_i32 s39, s5, 31
	s_lshl_b64 s[36:37], s[24:25], 4
	s_lshr_b32 s25, s39, 27
	s_add_nc_u64 s[14:15], s[14:15], s[16:17]
	s_add_co_i32 s5, s5, s25
	s_wait_alu 0xfffe
	s_add_nc_u64 s[16:17], s[22:23], s[36:37]
	v_add_co_u32 v21, vcc_lo, s14, v1
	s_and_b32 s24, ttmp7, 0xffff
	s_ashr_i32 s25, s5, 5
	v_add_co_ci_u32_e64 v22, null, s15, v2, vcc_lo
	v_add_co_u32 v23, vcc_lo, s16, v1
	s_cmp_le_i32 s24, s25
	s_wait_alu 0xfffd
	v_add_co_ci_u32_e64 v24, null, s17, v2, vcc_lo
	s_cselect_b32 s22, -1, 0
	s_cmp_gt_i32 s38, 0
	s_mov_b32 s5, 0
	s_cselect_b32 s23, -1, 0
	s_add_nc_u64 s[14:15], s[0:1], 0x80
	s_branch .LBB29_4
.LBB29_3:                               ;   in Loop: Header=BB29_4 Depth=1
	s_add_co_i32 s4, s4, 0x10000
	s_delay_alu instid0(SALU_CYCLE_1)
	s_cmp_lt_u32 s4, s33
	s_cbranch_scc0 .LBB29_26
.LBB29_4:                               ; =>This Loop Header: Depth=1
                                        ;     Child Loop BB29_7 Depth 2
                                        ;       Child Loop BB29_10 Depth 3
                                        ;         Child Loop BB29_24 Depth 4
	s_and_not1_b32 vcc_lo, exec_lo, s22
	s_wait_alu 0xfffe
	s_cbranch_vccnz .LBB29_3
; %bb.5:                                ;   in Loop: Header=BB29_4 Depth=1
	s_load_b32 s1, s[14:15], 0x4
	s_mul_u64 s[34:35], s[20:21], s[4:5]
	s_mul_u64 s[36:37], s[8:9], s[4:5]
	s_wait_alu 0xfffe
	s_lshl_b64 s[34:35], s[34:35], 4
	s_mul_u64 s[16:17], s[12:13], s[4:5]
	s_wait_alu 0xfffe
	v_add_co_u32 v25, vcc_lo, v21, s34
	s_wait_alu 0xfffd
	v_add_co_ci_u32_e64 v26, null, s35, v22, vcc_lo
	s_lshl_b64 s[34:35], s[36:37], 4
	s_lshl_b64 s[16:17], s[16:17], 4
	s_wait_alu 0xfffe
	v_add_co_u32 v27, vcc_lo, v23, s34
	s_wait_alu 0xfffd
	v_add_co_ci_u32_e64 v28, null, s35, v24, vcc_lo
	s_add_nc_u64 s[16:17], s[6:7], s[16:17]
	s_mov_b32 s34, s24
	s_branch .LBB29_7
.LBB29_6:                               ;   in Loop: Header=BB29_7 Depth=2
	s_wait_kmcnt 0x0
	s_add_co_i32 s34, s34, s1
	s_wait_alu 0xfffe
	s_cmp_gt_i32 s34, s25
	s_cbranch_scc1 .LBB29_3
.LBB29_7:                               ;   Parent Loop BB29_4 Depth=1
                                        ; =>  This Loop Header: Depth=2
                                        ;       Child Loop BB29_10 Depth 3
                                        ;         Child Loop BB29_24 Depth 4
	s_and_not1_b32 vcc_lo, exec_lo, s23
	s_wait_alu 0xfffe
	s_cbranch_vccnz .LBB29_6
; %bb.8:                                ;   in Loop: Header=BB29_7 Depth=2
	v_lshl_add_u32 v8, s34, 5, v16
	s_mov_b32 s36, 0
	s_delay_alu instid0(VALU_DEP_1) | instskip(SKIP_3) | instid1(VALU_DEP_4)
	v_ashrrev_i32_e32 v9, 31, v8
	v_mul_lo_u32 v4, s11, v8
	v_mad_co_u64_u32 v[0:1], null, s10, v8, 0
	v_mul_lo_u32 v6, s27, v8
	v_mul_lo_u32 v5, s10, v9
	v_mad_co_u64_u32 v[2:3], null, s26, v8, 0
	v_mul_lo_u32 v7, s26, v9
	v_cmp_gt_i32_e32 vcc_lo, s38, v8
	s_delay_alu instid0(VALU_DEP_4) | instskip(SKIP_2) | instid1(VALU_DEP_4)
	v_add3_u32 v1, v1, v5, v4
	v_lshlrev_b64_e32 v[4:5], 4, v[8:9]
	s_and_b32 s35, s2, vcc_lo
	v_add3_u32 v3, v3, v7, v6
	s_delay_alu instid0(VALU_DEP_3) | instskip(NEXT) | instid1(VALU_DEP_3)
	v_lshlrev_b64_e32 v[0:1], 4, v[0:1]
	v_add_co_u32 v29, s0, s16, v4
	s_delay_alu instid0(VALU_DEP_3) | instskip(SKIP_2) | instid1(VALU_DEP_4)
	v_lshlrev_b64_e32 v[2:3], 4, v[2:3]
	s_wait_alu 0xf1ff
	v_add_co_ci_u32_e64 v30, null, s17, v5, s0
	v_add_co_u32 v31, s0, s16, v0
	s_wait_alu 0xf1ff
	v_add_co_ci_u32_e64 v32, null, s17, v1, s0
	v_add_co_u32 v9, s0, v27, v2
	;; [unrolled: 3-line block ×3, first 2 shown]
	s_wait_alu 0xf1ff
	v_add_co_ci_u32_e64 v12, null, v32, v5, s0
	s_branch .LBB29_10
.LBB29_9:                               ;   in Loop: Header=BB29_10 Depth=3
	s_wait_alu 0xfffe
	s_or_b32 exec_lo, exec_lo, s0
	s_add_co_i32 s36, s36, 32
	s_wait_loadcnt 0x0
	s_wait_storecnt 0x0
	s_wait_alu 0xfffe
	s_cmp_ge_i32 s36, s38
	s_barrier_signal -1
	s_barrier_wait -1
	global_inv scope:SCOPE_SE
	s_cbranch_scc1 .LBB29_6
.LBB29_10:                              ;   Parent Loop BB29_4 Depth=1
                                        ;     Parent Loop BB29_7 Depth=2
                                        ; =>    This Loop Header: Depth=3
                                        ;         Child Loop BB29_24 Depth 4
	s_wait_alu 0xfffe
	v_add_nc_u32_e32 v2, s36, v16
	v_mov_b32_e32 v0, 0
	v_dual_mov_b32 v1, 0 :: v_dual_mov_b32 v4, 0
	v_mov_b32_e32 v6, 0
	s_delay_alu instid0(VALU_DEP_4)
	v_cmp_gt_i32_e32 vcc_lo, s38, v2
	v_mov_b32_e32 v5, 0
	v_mov_b32_e32 v7, 0
	s_and_b32 s37, s2, vcc_lo
	s_wait_alu 0xfffe
	s_and_saveexec_b32 s0, s37
	s_cbranch_execz .LBB29_12
; %bb.11:                               ;   in Loop: Header=BB29_10 Depth=3
	v_ashrrev_i32_e32 v4, 31, v2
	v_mul_lo_u32 v5, s19, v2
	v_mad_co_u64_u32 v[2:3], null, s18, v2, 0
	s_delay_alu instid0(VALU_DEP_3) | instskip(NEXT) | instid1(VALU_DEP_1)
	v_mul_lo_u32 v4, s18, v4
	v_add3_u32 v3, v3, v4, v5
	s_delay_alu instid0(VALU_DEP_1) | instskip(NEXT) | instid1(VALU_DEP_1)
	v_lshlrev_b64_e32 v[2:3], 4, v[2:3]
	v_add_co_u32 v2, vcc_lo, v25, v2
	s_wait_alu 0xfffd
	s_delay_alu instid0(VALU_DEP_2)
	v_add_co_ci_u32_e64 v3, null, v26, v3, vcc_lo
	global_load_b128 v[4:7], v[2:3], off
.LBB29_12:                              ;   in Loop: Header=BB29_10 Depth=3
	s_wait_alu 0xfffe
	s_or_b32 exec_lo, exec_lo, s0
	v_add_nc_u32_e32 v13, s36, v15
	s_mov_b32 s37, exec_lo
	s_wait_loadcnt 0x0
	ds_store_b128 v19, v[4:7]
	v_cndmask_b32_e64 v2, v8, v13, s3
	v_cndmask_b32_e64 v3, v13, v8, s3
	s_delay_alu instid0(VALU_DEP_1)
	v_cmp_gt_i32_e32 vcc_lo, v2, v3
	s_wait_alu 0xfffd
	v_dual_cndmask_b32 v14, v13, v8 :: v_dual_cndmask_b32 v33, v8, v13
	v_cmp_le_i32_e32 vcc_lo, v2, v3
	v_mov_b32_e32 v2, 0
	v_mov_b32_e32 v3, 0
	s_delay_alu instid0(VALU_DEP_4) | instskip(NEXT) | instid1(VALU_DEP_1)
	v_max_i32_e32 v14, v14, v33
	v_cmpx_gt_i32_e64 s38, v14
	s_cbranch_execz .LBB29_22
; %bb.13:                               ;   in Loop: Header=BB29_10 Depth=3
                                        ; implicit-def: $vgpr2_vgpr3
	s_and_saveexec_b32 s0, vcc_lo
	s_wait_alu 0xfffe
	s_xor_b32 s0, exec_lo, s0
	s_cbranch_execz .LBB29_19
; %bb.14:                               ;   in Loop: Header=BB29_10 Depth=3
	s_mov_b32 s39, exec_lo
                                        ; implicit-def: $vgpr2_vgpr3
	v_cmpx_ne_u32_e64 v13, v8
	s_wait_alu 0xfffe
	s_xor_b32 s39, exec_lo, s39
	s_cbranch_execz .LBB29_16
; %bb.15:                               ;   in Loop: Header=BB29_10 Depth=3
	v_ashrrev_i32_e32 v14, 31, v13
	s_delay_alu instid0(VALU_DEP_1) | instskip(NEXT) | instid1(VALU_DEP_1)
	v_lshlrev_b64_e32 v[0:1], 4, v[13:14]
	v_add_co_u32 v0, vcc_lo, v31, v0
	s_wait_alu 0xfffd
	s_delay_alu instid0(VALU_DEP_2)
	v_add_co_ci_u32_e64 v1, null, v32, v1, vcc_lo
	global_load_b128 v[0:3], v[0:1], off
.LBB29_16:                              ;   in Loop: Header=BB29_10 Depth=3
	s_wait_alu 0xfffe
	s_and_not1_saveexec_b32 s39, s39
	s_cbranch_execz .LBB29_18
; %bb.17:                               ;   in Loop: Header=BB29_10 Depth=3
	s_wait_loadcnt 0x0
	global_load_b64 v[0:1], v[11:12], off
	v_mov_b32_e32 v2, 0
	v_mov_b32_e32 v3, 0
.LBB29_18:                              ;   in Loop: Header=BB29_10 Depth=3
	s_wait_alu 0xfffe
	s_or_b32 exec_lo, exec_lo, s39
                                        ; implicit-def: $vgpr13
.LBB29_19:                              ;   in Loop: Header=BB29_10 Depth=3
	s_wait_alu 0xfffe
	s_and_not1_saveexec_b32 s0, s0
	s_cbranch_execz .LBB29_21
; %bb.20:                               ;   in Loop: Header=BB29_10 Depth=3
	s_wait_loadcnt 0x0
	v_ashrrev_i32_e32 v2, 31, v13
	v_mul_lo_u32 v3, s11, v13
	v_mad_co_u64_u32 v[0:1], null, s10, v13, 0
	s_delay_alu instid0(VALU_DEP_3) | instskip(NEXT) | instid1(VALU_DEP_1)
	v_mul_lo_u32 v2, s10, v2
	v_add3_u32 v1, v1, v2, v3
	s_delay_alu instid0(VALU_DEP_1) | instskip(NEXT) | instid1(VALU_DEP_1)
	v_lshlrev_b64_e32 v[0:1], 4, v[0:1]
	v_add_co_u32 v0, vcc_lo, v29, v0
	s_wait_alu 0xfffd
	s_delay_alu instid0(VALU_DEP_2)
	v_add_co_ci_u32_e64 v1, null, v30, v1, vcc_lo
	global_load_b128 v[0:3], v[0:1], off
	s_wait_loadcnt 0x0
	v_xor_b32_e32 v3, 0x80000000, v3
.LBB29_21:                              ;   in Loop: Header=BB29_10 Depth=3
	s_wait_alu 0xfffe
	s_or_b32 exec_lo, exec_lo, s0
.LBB29_22:                              ;   in Loop: Header=BB29_10 Depth=3
	s_wait_alu 0xfffe
	s_or_b32 exec_lo, exec_lo, s37
	s_wait_loadcnt 0x0
	ds_store_b128 v20, v[0:3]
	s_wait_dscnt 0x0
	s_barrier_signal -1
	s_barrier_wait -1
	global_inv scope:SCOPE_SE
	s_and_saveexec_b32 s0, s35
	s_cbranch_execz .LBB29_9
; %bb.23:                               ;   in Loop: Header=BB29_10 Depth=3
	v_mov_b32_e32 v0, 0
	v_dual_mov_b32 v1, 0 :: v_dual_mov_b32 v2, 0
	v_dual_mov_b32 v3, 0 :: v_dual_mov_b32 v4, v18
	s_mov_b32 s37, 0
.LBB29_24:                              ;   Parent Loop BB29_4 Depth=1
                                        ;     Parent Loop BB29_7 Depth=2
                                        ;       Parent Loop BB29_10 Depth=3
                                        ; =>      This Inner Loop Header: Depth=4
	s_wait_alu 0xfffe
	v_add_nc_u32_e32 v7, s37, v17
	s_addk_co_i32 s37, 0x80
	ds_load_b128 v[33:36], v4
	ds_load_b128 v[37:40], v7
	ds_load_b128 v[41:44], v4 offset:512
	ds_load_b128 v[45:48], v7 offset:16
	s_wait_alu 0xfffe
	s_cmp_eq_u32 s37, 0x200
	s_wait_dscnt 0x2
	v_mul_f64_e32 v[5:6], v[35:36], v[39:40]
	v_mul_f64_e32 v[13:14], v[33:34], v[39:40]
	s_wait_dscnt 0x0
	v_mul_f64_e32 v[55:56], v[43:44], v[47:48]
	v_mul_f64_e32 v[57:58], v[41:42], v[47:48]
	s_delay_alu instid0(VALU_DEP_4) | instskip(NEXT) | instid1(VALU_DEP_4)
	v_fma_f64 v[5:6], v[33:34], v[37:38], -v[5:6]
	v_fma_f64 v[13:14], v[35:36], v[37:38], v[13:14]
	ds_load_b128 v[33:36], v4 offset:1024
	ds_load_b128 v[37:40], v7 offset:32
	;; [unrolled: 1-line block ×4, first 2 shown]
	v_fma_f64 v[41:42], v[41:42], v[45:46], -v[55:56]
	v_fma_f64 v[43:44], v[43:44], v[45:46], v[57:58]
	s_wait_dscnt 0x2
	v_mul_f64_e32 v[59:60], v[35:36], v[39:40]
	v_mul_f64_e32 v[39:40], v[33:34], v[39:40]
	v_add_f64_e32 v[0:1], v[0:1], v[5:6]
	v_add_f64_e32 v[2:3], v[2:3], v[13:14]
	s_wait_dscnt 0x0
	v_mul_f64_e32 v[5:6], v[49:50], v[53:54]
	v_mul_f64_e32 v[13:14], v[47:48], v[53:54]
	v_fma_f64 v[45:46], v[33:34], v[37:38], -v[59:60]
	v_fma_f64 v[53:54], v[35:36], v[37:38], v[39:40]
	v_add_f64_e32 v[55:56], v[0:1], v[41:42]
	v_add_f64_e32 v[57:58], v[2:3], v[43:44]
	ds_load_b128 v[0:3], v4 offset:2048
	ds_load_b128 v[33:36], v7 offset:64
	;; [unrolled: 1-line block ×4, first 2 shown]
	v_fma_f64 v[5:6], v[47:48], v[51:52], -v[5:6]
	v_fma_f64 v[13:14], v[49:50], v[51:52], v[13:14]
	s_wait_dscnt 0x2
	v_mul_f64_e32 v[59:60], v[2:3], v[35:36]
	v_mul_f64_e32 v[35:36], v[0:1], v[35:36]
	s_wait_dscnt 0x0
	v_mul_f64_e32 v[51:52], v[39:40], v[43:44]
	v_add_f64_e32 v[45:46], v[55:56], v[45:46]
	v_add_f64_e32 v[47:48], v[57:58], v[53:54]
	v_mul_f64_e32 v[53:54], v[37:38], v[43:44]
	v_fma_f64 v[55:56], v[0:1], v[33:34], -v[59:60]
	v_fma_f64 v[57:58], v[2:3], v[33:34], v[35:36]
	v_fma_f64 v[37:38], v[37:38], v[41:42], -v[51:52]
	v_add_f64_e32 v[5:6], v[45:46], v[5:6]
	v_add_f64_e32 v[13:14], v[47:48], v[13:14]
	ds_load_b128 v[0:3], v4 offset:3072
	ds_load_b128 v[33:36], v7 offset:96
	;; [unrolled: 1-line block ×4, first 2 shown]
	v_fma_f64 v[39:40], v[39:40], v[41:42], v[53:54]
	v_add_nc_u32_e32 v4, 0x1000, v4
	s_wait_dscnt 0x2
	v_mul_f64_e32 v[59:60], v[2:3], v[35:36]
	v_mul_f64_e32 v[35:36], v[0:1], v[35:36]
	s_wait_dscnt 0x0
	v_mul_f64_e32 v[41:42], v[45:46], v[49:50]
	v_mul_f64_e32 v[49:50], v[43:44], v[49:50]
	v_add_f64_e32 v[5:6], v[5:6], v[55:56]
	v_add_f64_e32 v[13:14], v[13:14], v[57:58]
	v_fma_f64 v[0:1], v[0:1], v[33:34], -v[59:60]
	v_fma_f64 v[2:3], v[2:3], v[33:34], v[35:36]
	v_fma_f64 v[33:34], v[43:44], v[47:48], -v[41:42]
	v_fma_f64 v[35:36], v[45:46], v[47:48], v[49:50]
	v_add_f64_e32 v[5:6], v[5:6], v[37:38]
	v_add_f64_e32 v[13:14], v[13:14], v[39:40]
	s_delay_alu instid0(VALU_DEP_2) | instskip(NEXT) | instid1(VALU_DEP_2)
	v_add_f64_e32 v[0:1], v[5:6], v[0:1]
	v_add_f64_e32 v[2:3], v[13:14], v[2:3]
	s_delay_alu instid0(VALU_DEP_2) | instskip(NEXT) | instid1(VALU_DEP_2)
	v_add_f64_e32 v[0:1], v[0:1], v[33:34]
	v_add_f64_e32 v[2:3], v[2:3], v[35:36]
	s_cbranch_scc0 .LBB29_24
; %bb.25:                               ;   in Loop: Header=BB29_10 Depth=3
	global_load_b128 v[4:7], v[9:10], off
	v_mul_f64_e32 v[13:14], s[30:31], v[2:3]
	v_mul_f64_e32 v[33:34], s[30:31], v[0:1]
	s_delay_alu instid0(VALU_DEP_2) | instskip(NEXT) | instid1(VALU_DEP_2)
	v_fma_f64 v[0:1], s[28:29], v[0:1], -v[13:14]
	v_fma_f64 v[2:3], s[28:29], v[2:3], v[33:34]
	s_wait_loadcnt 0x0
	s_delay_alu instid0(VALU_DEP_2) | instskip(NEXT) | instid1(VALU_DEP_2)
	v_add_f64_e32 v[0:1], v[0:1], v[4:5]
	v_add_f64_e32 v[2:3], v[2:3], v[6:7]
	global_store_b128 v[9:10], v[0:3], off
	s_branch .LBB29_9
.LBB29_26:
	s_endpgm
	.section	.rodata,"a",@progbits
	.p2align	6, 0x0
	.amdhsa_kernel _ZL24rocblas_symm_hemm_kernelILb1ELb1ELi32EPK19rocblas_complex_numIdES3_PS1_EvbiiT2_T3_lllS6_lllT4_llli
		.amdhsa_group_segment_fixed_size 32768
		.amdhsa_private_segment_fixed_size 0
		.amdhsa_kernarg_size 384
		.amdhsa_user_sgpr_count 2
		.amdhsa_user_sgpr_dispatch_ptr 0
		.amdhsa_user_sgpr_queue_ptr 0
		.amdhsa_user_sgpr_kernarg_segment_ptr 1
		.amdhsa_user_sgpr_dispatch_id 0
		.amdhsa_user_sgpr_private_segment_size 0
		.amdhsa_wavefront_size32 1
		.amdhsa_uses_dynamic_stack 0
		.amdhsa_enable_private_segment 0
		.amdhsa_system_sgpr_workgroup_id_x 1
		.amdhsa_system_sgpr_workgroup_id_y 1
		.amdhsa_system_sgpr_workgroup_id_z 1
		.amdhsa_system_sgpr_workgroup_info 0
		.amdhsa_system_vgpr_workitem_id 1
		.amdhsa_next_free_vgpr 61
		.amdhsa_next_free_sgpr 40
		.amdhsa_reserve_vcc 1
		.amdhsa_float_round_mode_32 0
		.amdhsa_float_round_mode_16_64 0
		.amdhsa_float_denorm_mode_32 3
		.amdhsa_float_denorm_mode_16_64 3
		.amdhsa_fp16_overflow 0
		.amdhsa_workgroup_processor_mode 1
		.amdhsa_memory_ordered 1
		.amdhsa_forward_progress 1
		.amdhsa_inst_pref_size 15
		.amdhsa_round_robin_scheduling 0
		.amdhsa_exception_fp_ieee_invalid_op 0
		.amdhsa_exception_fp_denorm_src 0
		.amdhsa_exception_fp_ieee_div_zero 0
		.amdhsa_exception_fp_ieee_overflow 0
		.amdhsa_exception_fp_ieee_underflow 0
		.amdhsa_exception_fp_ieee_inexact 0
		.amdhsa_exception_int_div_zero 0
	.end_amdhsa_kernel
	.section	.text._ZL24rocblas_symm_hemm_kernelILb1ELb1ELi32EPK19rocblas_complex_numIdES3_PS1_EvbiiT2_T3_lllS6_lllT4_llli,"axG",@progbits,_ZL24rocblas_symm_hemm_kernelILb1ELb1ELi32EPK19rocblas_complex_numIdES3_PS1_EvbiiT2_T3_lllS6_lllT4_llli,comdat
.Lfunc_end29:
	.size	_ZL24rocblas_symm_hemm_kernelILb1ELb1ELi32EPK19rocblas_complex_numIdES3_PS1_EvbiiT2_T3_lllS6_lllT4_llli, .Lfunc_end29-_ZL24rocblas_symm_hemm_kernelILb1ELb1ELi32EPK19rocblas_complex_numIdES3_PS1_EvbiiT2_T3_lllS6_lllT4_llli
                                        ; -- End function
	.set _ZL24rocblas_symm_hemm_kernelILb1ELb1ELi32EPK19rocblas_complex_numIdES3_PS1_EvbiiT2_T3_lllS6_lllT4_llli.num_vgpr, 61
	.set _ZL24rocblas_symm_hemm_kernelILb1ELb1ELi32EPK19rocblas_complex_numIdES3_PS1_EvbiiT2_T3_lllS6_lllT4_llli.num_agpr, 0
	.set _ZL24rocblas_symm_hemm_kernelILb1ELb1ELi32EPK19rocblas_complex_numIdES3_PS1_EvbiiT2_T3_lllS6_lllT4_llli.numbered_sgpr, 40
	.set _ZL24rocblas_symm_hemm_kernelILb1ELb1ELi32EPK19rocblas_complex_numIdES3_PS1_EvbiiT2_T3_lllS6_lllT4_llli.num_named_barrier, 0
	.set _ZL24rocblas_symm_hemm_kernelILb1ELb1ELi32EPK19rocblas_complex_numIdES3_PS1_EvbiiT2_T3_lllS6_lllT4_llli.private_seg_size, 0
	.set _ZL24rocblas_symm_hemm_kernelILb1ELb1ELi32EPK19rocblas_complex_numIdES3_PS1_EvbiiT2_T3_lllS6_lllT4_llli.uses_vcc, 1
	.set _ZL24rocblas_symm_hemm_kernelILb1ELb1ELi32EPK19rocblas_complex_numIdES3_PS1_EvbiiT2_T3_lllS6_lllT4_llli.uses_flat_scratch, 0
	.set _ZL24rocblas_symm_hemm_kernelILb1ELb1ELi32EPK19rocblas_complex_numIdES3_PS1_EvbiiT2_T3_lllS6_lllT4_llli.has_dyn_sized_stack, 0
	.set _ZL24rocblas_symm_hemm_kernelILb1ELb1ELi32EPK19rocblas_complex_numIdES3_PS1_EvbiiT2_T3_lllS6_lllT4_llli.has_recursion, 0
	.set _ZL24rocblas_symm_hemm_kernelILb1ELb1ELi32EPK19rocblas_complex_numIdES3_PS1_EvbiiT2_T3_lllS6_lllT4_llli.has_indirect_call, 0
	.section	.AMDGPU.csdata,"",@progbits
; Kernel info:
; codeLenInByte = 1836
; TotalNumSgprs: 42
; NumVgprs: 61
; ScratchSize: 0
; MemoryBound: 1
; FloatMode: 240
; IeeeMode: 1
; LDSByteSize: 32768 bytes/workgroup (compile time only)
; SGPRBlocks: 0
; VGPRBlocks: 7
; NumSGPRsForWavesPerEU: 42
; NumVGPRsForWavesPerEU: 61
; Occupancy: 16
; WaveLimiterHint : 1
; COMPUTE_PGM_RSRC2:SCRATCH_EN: 0
; COMPUTE_PGM_RSRC2:USER_SGPR: 2
; COMPUTE_PGM_RSRC2:TRAP_HANDLER: 0
; COMPUTE_PGM_RSRC2:TGID_X_EN: 1
; COMPUTE_PGM_RSRC2:TGID_Y_EN: 1
; COMPUTE_PGM_RSRC2:TGID_Z_EN: 1
; COMPUTE_PGM_RSRC2:TIDIG_COMP_CNT: 1
	.section	.text._ZL24rocblas_symm_hemm_kernelILb1ELb0ELi32E19rocblas_complex_numIdEPKS1_PS1_EvbiiT2_T3_lllS6_lllT4_llli,"axG",@progbits,_ZL24rocblas_symm_hemm_kernelILb1ELb0ELi32E19rocblas_complex_numIdEPKS1_PS1_EvbiiT2_T3_lllS6_lllT4_llli,comdat
	.globl	_ZL24rocblas_symm_hemm_kernelILb1ELb0ELi32E19rocblas_complex_numIdEPKS1_PS1_EvbiiT2_T3_lllS6_lllT4_llli ; -- Begin function _ZL24rocblas_symm_hemm_kernelILb1ELb0ELi32E19rocblas_complex_numIdEPKS1_PS1_EvbiiT2_T3_lllS6_lllT4_llli
	.p2align	8
	.type	_ZL24rocblas_symm_hemm_kernelILb1ELb0ELi32E19rocblas_complex_numIdEPKS1_PS1_EvbiiT2_T3_lllS6_lllT4_llli,@function
_ZL24rocblas_symm_hemm_kernelILb1ELb0ELi32E19rocblas_complex_numIdEPKS1_PS1_EvbiiT2_T3_lllS6_lllT4_llli: ; @_ZL24rocblas_symm_hemm_kernelILb1ELb0ELi32E19rocblas_complex_numIdEPKS1_PS1_EvbiiT2_T3_lllS6_lllT4_llli
; %bb.0:
	s_load_b512 s[4:19], s[0:1], 0x10
	s_wait_kmcnt 0x0
	v_cmp_eq_f64_e64 s2, s[4:5], 0
	v_cmp_eq_f64_e64 s3, s[6:7], 0
	s_and_b32 s2, s2, s3
	s_delay_alu instid0(SALU_CYCLE_1)
	s_and_b32 vcc_lo, exec_lo, s2
	s_cbranch_vccnz .LBB30_26
; %bb.1:
	s_load_b32 s33, s[0:1], 0x80
	s_lshr_b32 s34, ttmp7, 16
	s_wait_kmcnt 0x0
	s_cmp_ge_u32 s34, s33
	s_cbranch_scc1 .LBB30_26
; %bb.2:
	s_load_b96 s[36:38], s[0:1], 0x0
	v_and_b32_e32 v19, 0x3ff, v0
	s_load_b256 s[20:27], s[0:1], 0x50
	v_bfe_u32 v20, v0, 10, 10
	s_load_b128 s[28:31], s[0:1], 0x70
	s_lshl_b64 s[2:3], s[18:19], 4
	v_lshl_add_u32 v8, ttmp9, 5, v19
	v_lshlrev_b32_e32 v21, 9, v19
	v_lshlrev_b32_e32 v2, 4, v20
	s_lshl_b64 s[18:19], s[10:11], 4
	s_add_nc_u64 s[10:11], s[16:17], s[2:3]
	v_ashrrev_i32_e32 v9, 31, v8
	v_mul_lo_u32 v3, s13, v8
	v_or_b32_e32 v22, 0x4000, v2
	v_mad_co_u64_u32 v[0:1], null, s12, v8, 0
	v_add_nc_u32_e32 v23, v21, v2
	v_mul_lo_u32 v2, s12, v9
	v_lshlrev_b64_e32 v[9:10], 4, v[8:9]
	v_add_nc_u32_e32 v24, v22, v21
	s_wait_kmcnt 0x0
	s_bitcmp1_b32 s36, 0
	v_cmp_gt_i32_e64 s3, s37, v8
	s_cselect_b32 s2, -1, 0
	s_add_co_i32 s35, s38, -1
	s_add_nc_u64 s[8:9], s[8:9], s[18:19]
	s_ashr_i32 s16, s35, 31
	v_add3_u32 v1, v1, v2, v3
	s_lshr_b32 s36, s16, 27
	s_lshl_b64 s[16:17], s[26:27], 4
	s_wait_alu 0xfffe
	s_add_co_i32 s35, s35, s36
	s_add_nc_u64 s[16:17], s[24:25], s[16:17]
	s_and_b32 s26, ttmp7, 0xffff
	s_ashr_i32 s27, s35, 5
	v_add_co_u32 v25, vcc_lo, s16, v9
	s_cmp_le_i32 s26, s27
	v_lshlrev_b64_e32 v[11:12], 4, v[0:1]
	v_add_co_ci_u32_e64 v26, null, s17, v10, vcc_lo
	s_cselect_b32 s24, -1, 0
	s_cmp_gt_i32 s37, 0
	s_mov_b32 s35, 0
	s_cselect_b32 s25, -1, 0
	s_add_nc_u64 s[16:17], s[0:1], 0x88
	s_branch .LBB30_4
.LBB30_3:                               ;   in Loop: Header=BB30_4 Depth=1
	s_add_co_i32 s34, s34, 0x10000
	s_delay_alu instid0(SALU_CYCLE_1)
	s_cmp_lt_u32 s34, s33
	s_cbranch_scc0 .LBB30_26
.LBB30_4:                               ; =>This Loop Header: Depth=1
                                        ;     Child Loop BB30_7 Depth 2
                                        ;       Child Loop BB30_10 Depth 3
                                        ;         Child Loop BB30_24 Depth 4
	s_and_not1_b32 vcc_lo, exec_lo, s24
	s_wait_alu 0xfffe
	s_cbranch_vccnz .LBB30_3
; %bb.5:                                ;   in Loop: Header=BB30_4 Depth=1
	s_mul_u64 s[18:19], s[14:15], s[34:35]
	s_load_b32 s36, s[16:17], 0x4
	s_lshl_b64 s[18:19], s[18:19], 4
	s_mul_u64 s[40:41], s[30:31], s[34:35]
	s_wait_alu 0xfffe
	s_add_nc_u64 s[18:19], s[8:9], s[18:19]
	s_mul_u64 s[0:1], s[22:23], s[34:35]
	s_wait_alu 0xfffe
	v_add_co_u32 v27, vcc_lo, s18, v9
	s_wait_alu 0xfffd
	v_add_co_ci_u32_e64 v28, null, s19, v10, vcc_lo
	v_add_co_u32 v29, vcc_lo, s18, v11
	s_wait_alu 0xfffd
	v_add_co_ci_u32_e64 v30, null, s19, v12, vcc_lo
	s_lshl_b64 s[18:19], s[40:41], 4
	s_lshl_b64 s[0:1], s[0:1], 4
	s_wait_alu 0xfffe
	v_add_co_u32 v31, vcc_lo, v25, s18
	s_wait_alu 0xfffd
	v_add_co_ci_u32_e64 v32, null, s19, v26, vcc_lo
	v_add_co_u32 v13, vcc_lo, v27, v11
	s_wait_alu 0xfffd
	v_add_co_ci_u32_e64 v14, null, v28, v12, vcc_lo
	s_add_nc_u64 s[18:19], s[10:11], s[0:1]
	s_mov_b32 s39, s26
	s_branch .LBB30_7
.LBB30_6:                               ;   in Loop: Header=BB30_7 Depth=2
	s_wait_kmcnt 0x0
	s_add_co_i32 s39, s39, s36
	s_wait_alu 0xfffe
	s_cmp_gt_i32 s39, s27
	s_cbranch_scc1 .LBB30_3
.LBB30_7:                               ;   Parent Loop BB30_4 Depth=1
                                        ; =>  This Loop Header: Depth=2
                                        ;       Child Loop BB30_10 Depth 3
                                        ;         Child Loop BB30_24 Depth 4
	s_and_not1_b32 vcc_lo, exec_lo, s25
	s_wait_alu 0xfffe
	s_cbranch_vccnz .LBB30_6
; %bb.8:                                ;   in Loop: Header=BB30_7 Depth=2
	v_lshl_add_u32 v4, s39, 5, v20
	s_mov_b32 s41, 0
	s_delay_alu instid0(VALU_DEP_1) | instskip(SKIP_3) | instid1(VALU_DEP_4)
	v_ashrrev_i32_e32 v5, 31, v4
	v_mul_lo_u32 v6, s21, v4
	v_mad_co_u64_u32 v[0:1], null, s20, v4, 0
	v_mul_lo_u32 v15, s29, v4
	v_mul_lo_u32 v7, s20, v5
	v_mad_co_u64_u32 v[2:3], null, s28, v4, 0
	v_mul_lo_u32 v5, s28, v5
	v_cmp_gt_i32_e32 vcc_lo, s38, v4
	s_delay_alu instid0(VALU_DEP_4) | instskip(SKIP_1) | instid1(VALU_DEP_3)
	v_add3_u32 v1, v1, v7, v6
	s_and_b32 s40, s3, vcc_lo
	v_add3_u32 v3, v3, v5, v15
	s_delay_alu instid0(VALU_DEP_2) | instskip(NEXT) | instid1(VALU_DEP_2)
	v_lshlrev_b64_e32 v[0:1], 4, v[0:1]
	v_lshlrev_b64_e32 v[2:3], 4, v[2:3]
	s_delay_alu instid0(VALU_DEP_2) | instskip(SKIP_1) | instid1(VALU_DEP_3)
	v_add_co_u32 v33, s0, s18, v0
	s_wait_alu 0xf1ff
	v_add_co_ci_u32_e64 v34, null, s19, v1, s0
	s_delay_alu instid0(VALU_DEP_3)
	v_add_co_u32 v15, s0, v31, v2
	s_wait_alu 0xf1ff
	v_add_co_ci_u32_e64 v16, null, v32, v3, s0
	s_branch .LBB30_10
.LBB30_9:                               ;   in Loop: Header=BB30_10 Depth=3
	s_wait_alu 0xfffe
	s_or_b32 exec_lo, exec_lo, s0
	s_add_co_i32 s41, s41, 32
	s_wait_loadcnt 0x0
	s_wait_storecnt 0x0
	s_wait_alu 0xfffe
	s_cmp_ge_i32 s41, s37
	s_barrier_signal -1
	s_barrier_wait -1
	global_inv scope:SCOPE_SE
	s_cbranch_scc1 .LBB30_6
.LBB30_10:                              ;   Parent Loop BB30_4 Depth=1
                                        ;     Parent Loop BB30_7 Depth=2
                                        ; =>    This Loop Header: Depth=3
                                        ;         Child Loop BB30_24 Depth 4
	s_wait_alu 0xfffe
	v_add_nc_u32_e32 v2, s41, v20
	v_mov_b32_e32 v6, 0
	s_mov_b32 s42, exec_lo
	v_mov_b32_e32 v7, 0
	s_delay_alu instid0(VALU_DEP_3) | instskip(SKIP_1) | instid1(VALU_DEP_1)
	v_cndmask_b32_e64 v0, v2, v8, s2
	v_cndmask_b32_e64 v1, v8, v2, s2
	v_cmp_gt_i32_e64 s0, v0, v1
	s_wait_alu 0xf1ff
	s_delay_alu instid0(VALU_DEP_1) | instskip(SKIP_4) | instid1(VALU_DEP_4)
	v_cndmask_b32_e64 v3, v8, v2, s0
	v_cndmask_b32_e64 v4, v2, v8, s0
	v_cmp_le_i32_e64 s0, v0, v1
	v_mov_b32_e32 v0, 0
	v_mov_b32_e32 v1, 0
	v_max_i32_e32 v3, v3, v4
	v_mov_b32_e32 v4, 0
	v_mov_b32_e32 v5, 0
	s_delay_alu instid0(VALU_DEP_3)
	v_cmpx_gt_i32_e64 s37, v3
	s_cbranch_execz .LBB30_20
; %bb.11:                               ;   in Loop: Header=BB30_10 Depth=3
                                        ; implicit-def: $vgpr6_vgpr7
	s_and_saveexec_b32 s1, s0
	s_wait_alu 0xfffe
	s_xor_b32 s1, exec_lo, s1
	s_cbranch_execz .LBB30_17
; %bb.12:                               ;   in Loop: Header=BB30_10 Depth=3
	s_mov_b32 s43, exec_lo
                                        ; implicit-def: $vgpr6_vgpr7
	v_cmpx_ne_u32_e64 v8, v2
	s_xor_b32 s43, exec_lo, s43
	s_cbranch_execz .LBB30_14
; %bb.13:                               ;   in Loop: Header=BB30_10 Depth=3
	v_ashrrev_i32_e32 v4, 31, v2
	v_mul_lo_u32 v5, s13, v2
	v_mad_co_u64_u32 v[2:3], null, s12, v2, 0
	s_delay_alu instid0(VALU_DEP_3) | instskip(NEXT) | instid1(VALU_DEP_1)
	v_mul_lo_u32 v4, s12, v4
	v_add3_u32 v3, v3, v4, v5
	s_delay_alu instid0(VALU_DEP_1) | instskip(NEXT) | instid1(VALU_DEP_1)
	v_lshlrev_b64_e32 v[2:3], 4, v[2:3]
	v_add_co_u32 v2, s0, v27, v2
	s_wait_alu 0xf1ff
	s_delay_alu instid0(VALU_DEP_2)
	v_add_co_ci_u32_e64 v3, null, v28, v3, s0
	global_load_b128 v[4:7], v[2:3], off
.LBB30_14:                              ;   in Loop: Header=BB30_10 Depth=3
	s_and_not1_saveexec_b32 s0, s43
	s_cbranch_execz .LBB30_16
; %bb.15:                               ;   in Loop: Header=BB30_10 Depth=3
	s_wait_loadcnt 0x0
	global_load_b64 v[4:5], v[13:14], off
	v_mov_b32_e32 v6, 0
	v_mov_b32_e32 v7, 0
.LBB30_16:                              ;   in Loop: Header=BB30_10 Depth=3
	s_wait_alu 0xfffe
	s_or_b32 exec_lo, exec_lo, s0
                                        ; implicit-def: $vgpr2
.LBB30_17:                              ;   in Loop: Header=BB30_10 Depth=3
	s_wait_alu 0xfffe
	s_and_not1_saveexec_b32 s1, s1
	s_cbranch_execz .LBB30_19
; %bb.18:                               ;   in Loop: Header=BB30_10 Depth=3
	v_ashrrev_i32_e32 v3, 31, v2
	s_delay_alu instid0(VALU_DEP_1) | instskip(NEXT) | instid1(VALU_DEP_1)
	v_lshlrev_b64_e32 v[2:3], 4, v[2:3]
	v_add_co_u32 v2, s0, v29, v2
	s_wait_alu 0xf1ff
	s_delay_alu instid0(VALU_DEP_2)
	v_add_co_ci_u32_e64 v3, null, v30, v3, s0
	s_wait_loadcnt 0x0
	global_load_b128 v[4:7], v[2:3], off
	s_wait_loadcnt 0x0
	v_xor_b32_e32 v7, 0x80000000, v7
.LBB30_19:                              ;   in Loop: Header=BB30_10 Depth=3
	s_wait_alu 0xfffe
	s_or_b32 exec_lo, exec_lo, s1
.LBB30_20:                              ;   in Loop: Header=BB30_10 Depth=3
	s_delay_alu instid0(SALU_CYCLE_1)
	s_or_b32 exec_lo, exec_lo, s42
	v_dual_mov_b32 v2, 0 :: v_dual_add_nc_u32 v17, s41, v19
	v_mov_b32_e32 v3, 0
	s_wait_loadcnt 0x0
	ds_store_b128 v23, v[4:7]
	v_cmp_gt_i32_e64 s0, s37, v17
	s_and_b32 s0, s0, vcc_lo
	s_wait_alu 0xfffe
	s_and_saveexec_b32 s1, s0
	s_cbranch_execz .LBB30_22
; %bb.21:                               ;   in Loop: Header=BB30_10 Depth=3
	v_ashrrev_i32_e32 v18, 31, v17
	s_delay_alu instid0(VALU_DEP_1) | instskip(NEXT) | instid1(VALU_DEP_1)
	v_lshlrev_b64_e32 v[0:1], 4, v[17:18]
	v_add_co_u32 v0, s0, v33, v0
	s_wait_alu 0xf1ff
	s_delay_alu instid0(VALU_DEP_2)
	v_add_co_ci_u32_e64 v1, null, v34, v1, s0
	global_load_b128 v[0:3], v[0:1], off
.LBB30_22:                              ;   in Loop: Header=BB30_10 Depth=3
	s_wait_alu 0xfffe
	s_or_b32 exec_lo, exec_lo, s1
	s_wait_loadcnt 0x0
	ds_store_b128 v24, v[0:3]
	s_wait_dscnt 0x0
	s_barrier_signal -1
	s_barrier_wait -1
	global_inv scope:SCOPE_SE
	s_and_saveexec_b32 s0, s40
	s_cbranch_execz .LBB30_9
; %bb.23:                               ;   in Loop: Header=BB30_10 Depth=3
	v_mov_b32_e32 v0, 0
	v_dual_mov_b32 v1, 0 :: v_dual_mov_b32 v2, 0
	v_dual_mov_b32 v3, 0 :: v_dual_mov_b32 v4, v22
	s_mov_b32 s1, 0
.LBB30_24:                              ;   Parent Loop BB30_4 Depth=1
                                        ;     Parent Loop BB30_7 Depth=2
                                        ;       Parent Loop BB30_10 Depth=3
                                        ; =>      This Inner Loop Header: Depth=4
	s_wait_alu 0xfffe
	v_add_nc_u32_e32 v7, s1, v21
	s_addk_co_i32 s1, 0x80
	ds_load_b128 v[35:38], v4
	ds_load_b128 v[39:42], v7
	ds_load_b128 v[43:46], v4 offset:512
	ds_load_b128 v[47:50], v7 offset:16
	s_wait_alu 0xfffe
	s_cmp_eq_u32 s1, 0x200
	s_wait_dscnt 0x2
	v_mul_f64_e32 v[5:6], v[37:38], v[41:42]
	v_mul_f64_e32 v[17:18], v[35:36], v[41:42]
	s_wait_dscnt 0x0
	v_mul_f64_e32 v[57:58], v[45:46], v[49:50]
	v_mul_f64_e32 v[59:60], v[43:44], v[49:50]
	s_delay_alu instid0(VALU_DEP_4) | instskip(NEXT) | instid1(VALU_DEP_4)
	v_fma_f64 v[5:6], v[35:36], v[39:40], -v[5:6]
	v_fma_f64 v[17:18], v[37:38], v[39:40], v[17:18]
	ds_load_b128 v[35:38], v4 offset:1024
	ds_load_b128 v[39:42], v7 offset:32
	ds_load_b128 v[49:52], v4 offset:1536
	ds_load_b128 v[53:56], v7 offset:48
	v_fma_f64 v[43:44], v[43:44], v[47:48], -v[57:58]
	v_fma_f64 v[45:46], v[45:46], v[47:48], v[59:60]
	s_wait_dscnt 0x2
	v_mul_f64_e32 v[61:62], v[37:38], v[41:42]
	v_mul_f64_e32 v[41:42], v[35:36], v[41:42]
	v_add_f64_e32 v[0:1], v[0:1], v[5:6]
	v_add_f64_e32 v[2:3], v[2:3], v[17:18]
	s_wait_dscnt 0x0
	v_mul_f64_e32 v[5:6], v[51:52], v[55:56]
	v_mul_f64_e32 v[17:18], v[49:50], v[55:56]
	v_fma_f64 v[47:48], v[35:36], v[39:40], -v[61:62]
	v_fma_f64 v[55:56], v[37:38], v[39:40], v[41:42]
	v_add_f64_e32 v[57:58], v[0:1], v[43:44]
	v_add_f64_e32 v[59:60], v[2:3], v[45:46]
	ds_load_b128 v[0:3], v4 offset:2048
	ds_load_b128 v[35:38], v7 offset:64
	;; [unrolled: 1-line block ×4, first 2 shown]
	v_fma_f64 v[5:6], v[49:50], v[53:54], -v[5:6]
	v_fma_f64 v[17:18], v[51:52], v[53:54], v[17:18]
	s_wait_dscnt 0x2
	v_mul_f64_e32 v[61:62], v[2:3], v[37:38]
	v_mul_f64_e32 v[37:38], v[0:1], v[37:38]
	s_wait_dscnt 0x0
	v_mul_f64_e32 v[53:54], v[41:42], v[45:46]
	v_add_f64_e32 v[47:48], v[57:58], v[47:48]
	v_add_f64_e32 v[49:50], v[59:60], v[55:56]
	v_mul_f64_e32 v[55:56], v[39:40], v[45:46]
	v_fma_f64 v[57:58], v[0:1], v[35:36], -v[61:62]
	v_fma_f64 v[59:60], v[2:3], v[35:36], v[37:38]
	v_fma_f64 v[39:40], v[39:40], v[43:44], -v[53:54]
	v_add_f64_e32 v[5:6], v[47:48], v[5:6]
	v_add_f64_e32 v[17:18], v[49:50], v[17:18]
	ds_load_b128 v[0:3], v4 offset:3072
	ds_load_b128 v[35:38], v7 offset:96
	;; [unrolled: 1-line block ×4, first 2 shown]
	v_fma_f64 v[41:42], v[41:42], v[43:44], v[55:56]
	v_add_nc_u32_e32 v4, 0x1000, v4
	s_wait_dscnt 0x2
	v_mul_f64_e32 v[61:62], v[2:3], v[37:38]
	v_mul_f64_e32 v[37:38], v[0:1], v[37:38]
	s_wait_dscnt 0x0
	v_mul_f64_e32 v[43:44], v[47:48], v[51:52]
	v_mul_f64_e32 v[51:52], v[45:46], v[51:52]
	v_add_f64_e32 v[5:6], v[5:6], v[57:58]
	v_add_f64_e32 v[17:18], v[17:18], v[59:60]
	v_fma_f64 v[0:1], v[0:1], v[35:36], -v[61:62]
	v_fma_f64 v[2:3], v[2:3], v[35:36], v[37:38]
	v_fma_f64 v[35:36], v[45:46], v[49:50], -v[43:44]
	v_fma_f64 v[37:38], v[47:48], v[49:50], v[51:52]
	v_add_f64_e32 v[5:6], v[5:6], v[39:40]
	v_add_f64_e32 v[17:18], v[17:18], v[41:42]
	s_delay_alu instid0(VALU_DEP_2) | instskip(NEXT) | instid1(VALU_DEP_2)
	v_add_f64_e32 v[0:1], v[5:6], v[0:1]
	v_add_f64_e32 v[2:3], v[17:18], v[2:3]
	s_delay_alu instid0(VALU_DEP_2) | instskip(NEXT) | instid1(VALU_DEP_2)
	v_add_f64_e32 v[0:1], v[0:1], v[35:36]
	v_add_f64_e32 v[2:3], v[2:3], v[37:38]
	s_cbranch_scc0 .LBB30_24
; %bb.25:                               ;   in Loop: Header=BB30_10 Depth=3
	global_load_b128 v[4:7], v[15:16], off
	v_mul_f64_e32 v[17:18], s[6:7], v[2:3]
	v_mul_f64_e32 v[35:36], s[6:7], v[0:1]
	s_delay_alu instid0(VALU_DEP_2) | instskip(NEXT) | instid1(VALU_DEP_2)
	v_fma_f64 v[0:1], s[4:5], v[0:1], -v[17:18]
	v_fma_f64 v[2:3], s[4:5], v[2:3], v[35:36]
	s_wait_loadcnt 0x0
	s_delay_alu instid0(VALU_DEP_2) | instskip(NEXT) | instid1(VALU_DEP_2)
	v_add_f64_e32 v[0:1], v[0:1], v[4:5]
	v_add_f64_e32 v[2:3], v[2:3], v[6:7]
	global_store_b128 v[15:16], v[0:3], off
	s_branch .LBB30_9
.LBB30_26:
	s_endpgm
	.section	.rodata,"a",@progbits
	.p2align	6, 0x0
	.amdhsa_kernel _ZL24rocblas_symm_hemm_kernelILb1ELb0ELi32E19rocblas_complex_numIdEPKS1_PS1_EvbiiT2_T3_lllS6_lllT4_llli
		.amdhsa_group_segment_fixed_size 32768
		.amdhsa_private_segment_fixed_size 0
		.amdhsa_kernarg_size 392
		.amdhsa_user_sgpr_count 2
		.amdhsa_user_sgpr_dispatch_ptr 0
		.amdhsa_user_sgpr_queue_ptr 0
		.amdhsa_user_sgpr_kernarg_segment_ptr 1
		.amdhsa_user_sgpr_dispatch_id 0
		.amdhsa_user_sgpr_private_segment_size 0
		.amdhsa_wavefront_size32 1
		.amdhsa_uses_dynamic_stack 0
		.amdhsa_enable_private_segment 0
		.amdhsa_system_sgpr_workgroup_id_x 1
		.amdhsa_system_sgpr_workgroup_id_y 1
		.amdhsa_system_sgpr_workgroup_id_z 1
		.amdhsa_system_sgpr_workgroup_info 0
		.amdhsa_system_vgpr_workitem_id 1
		.amdhsa_next_free_vgpr 63
		.amdhsa_next_free_sgpr 44
		.amdhsa_reserve_vcc 1
		.amdhsa_float_round_mode_32 0
		.amdhsa_float_round_mode_16_64 0
		.amdhsa_float_denorm_mode_32 3
		.amdhsa_float_denorm_mode_16_64 3
		.amdhsa_fp16_overflow 0
		.amdhsa_workgroup_processor_mode 1
		.amdhsa_memory_ordered 1
		.amdhsa_forward_progress 1
		.amdhsa_inst_pref_size 15
		.amdhsa_round_robin_scheduling 0
		.amdhsa_exception_fp_ieee_invalid_op 0
		.amdhsa_exception_fp_denorm_src 0
		.amdhsa_exception_fp_ieee_div_zero 0
		.amdhsa_exception_fp_ieee_overflow 0
		.amdhsa_exception_fp_ieee_underflow 0
		.amdhsa_exception_fp_ieee_inexact 0
		.amdhsa_exception_int_div_zero 0
	.end_amdhsa_kernel
	.section	.text._ZL24rocblas_symm_hemm_kernelILb1ELb0ELi32E19rocblas_complex_numIdEPKS1_PS1_EvbiiT2_T3_lllS6_lllT4_llli,"axG",@progbits,_ZL24rocblas_symm_hemm_kernelILb1ELb0ELi32E19rocblas_complex_numIdEPKS1_PS1_EvbiiT2_T3_lllS6_lllT4_llli,comdat
.Lfunc_end30:
	.size	_ZL24rocblas_symm_hemm_kernelILb1ELb0ELi32E19rocblas_complex_numIdEPKS1_PS1_EvbiiT2_T3_lllS6_lllT4_llli, .Lfunc_end30-_ZL24rocblas_symm_hemm_kernelILb1ELb0ELi32E19rocblas_complex_numIdEPKS1_PS1_EvbiiT2_T3_lllS6_lllT4_llli
                                        ; -- End function
	.set _ZL24rocblas_symm_hemm_kernelILb1ELb0ELi32E19rocblas_complex_numIdEPKS1_PS1_EvbiiT2_T3_lllS6_lllT4_llli.num_vgpr, 63
	.set _ZL24rocblas_symm_hemm_kernelILb1ELb0ELi32E19rocblas_complex_numIdEPKS1_PS1_EvbiiT2_T3_lllS6_lllT4_llli.num_agpr, 0
	.set _ZL24rocblas_symm_hemm_kernelILb1ELb0ELi32E19rocblas_complex_numIdEPKS1_PS1_EvbiiT2_T3_lllS6_lllT4_llli.numbered_sgpr, 44
	.set _ZL24rocblas_symm_hemm_kernelILb1ELb0ELi32E19rocblas_complex_numIdEPKS1_PS1_EvbiiT2_T3_lllS6_lllT4_llli.num_named_barrier, 0
	.set _ZL24rocblas_symm_hemm_kernelILb1ELb0ELi32E19rocblas_complex_numIdEPKS1_PS1_EvbiiT2_T3_lllS6_lllT4_llli.private_seg_size, 0
	.set _ZL24rocblas_symm_hemm_kernelILb1ELb0ELi32E19rocblas_complex_numIdEPKS1_PS1_EvbiiT2_T3_lllS6_lllT4_llli.uses_vcc, 1
	.set _ZL24rocblas_symm_hemm_kernelILb1ELb0ELi32E19rocblas_complex_numIdEPKS1_PS1_EvbiiT2_T3_lllS6_lllT4_llli.uses_flat_scratch, 0
	.set _ZL24rocblas_symm_hemm_kernelILb1ELb0ELi32E19rocblas_complex_numIdEPKS1_PS1_EvbiiT2_T3_lllS6_lllT4_llli.has_dyn_sized_stack, 0
	.set _ZL24rocblas_symm_hemm_kernelILb1ELb0ELi32E19rocblas_complex_numIdEPKS1_PS1_EvbiiT2_T3_lllS6_lllT4_llli.has_recursion, 0
	.set _ZL24rocblas_symm_hemm_kernelILb1ELb0ELi32E19rocblas_complex_numIdEPKS1_PS1_EvbiiT2_T3_lllS6_lllT4_llli.has_indirect_call, 0
	.section	.AMDGPU.csdata,"",@progbits
; Kernel info:
; codeLenInByte = 1804
; TotalNumSgprs: 46
; NumVgprs: 63
; ScratchSize: 0
; MemoryBound: 1
; FloatMode: 240
; IeeeMode: 1
; LDSByteSize: 32768 bytes/workgroup (compile time only)
; SGPRBlocks: 0
; VGPRBlocks: 7
; NumSGPRsForWavesPerEU: 46
; NumVGPRsForWavesPerEU: 63
; Occupancy: 16
; WaveLimiterHint : 1
; COMPUTE_PGM_RSRC2:SCRATCH_EN: 0
; COMPUTE_PGM_RSRC2:USER_SGPR: 2
; COMPUTE_PGM_RSRC2:TRAP_HANDLER: 0
; COMPUTE_PGM_RSRC2:TGID_X_EN: 1
; COMPUTE_PGM_RSRC2:TGID_Y_EN: 1
; COMPUTE_PGM_RSRC2:TGID_Z_EN: 1
; COMPUTE_PGM_RSRC2:TIDIG_COMP_CNT: 1
	.section	.text._ZL24rocblas_symm_hemm_kernelILb1ELb1ELi32E19rocblas_complex_numIdEPKS1_PS1_EvbiiT2_T3_lllS6_lllT4_llli,"axG",@progbits,_ZL24rocblas_symm_hemm_kernelILb1ELb1ELi32E19rocblas_complex_numIdEPKS1_PS1_EvbiiT2_T3_lllS6_lllT4_llli,comdat
	.globl	_ZL24rocblas_symm_hemm_kernelILb1ELb1ELi32E19rocblas_complex_numIdEPKS1_PS1_EvbiiT2_T3_lllS6_lllT4_llli ; -- Begin function _ZL24rocblas_symm_hemm_kernelILb1ELb1ELi32E19rocblas_complex_numIdEPKS1_PS1_EvbiiT2_T3_lllS6_lllT4_llli
	.p2align	8
	.type	_ZL24rocblas_symm_hemm_kernelILb1ELb1ELi32E19rocblas_complex_numIdEPKS1_PS1_EvbiiT2_T3_lllS6_lllT4_llli,@function
_ZL24rocblas_symm_hemm_kernelILb1ELb1ELi32E19rocblas_complex_numIdEPKS1_PS1_EvbiiT2_T3_lllS6_lllT4_llli: ; @_ZL24rocblas_symm_hemm_kernelILb1ELb1ELi32E19rocblas_complex_numIdEPKS1_PS1_EvbiiT2_T3_lllS6_lllT4_llli
; %bb.0:
	s_load_b512 s[4:19], s[0:1], 0x10
	s_wait_kmcnt 0x0
	v_cmp_eq_f64_e64 s2, s[4:5], 0
	v_cmp_eq_f64_e64 s3, s[6:7], 0
	s_and_b32 s2, s2, s3
	s_delay_alu instid0(SALU_CYCLE_1)
	s_and_b32 vcc_lo, exec_lo, s2
	s_cbranch_vccnz .LBB31_26
; %bb.1:
	s_load_b32 s33, s[0:1], 0x80
	s_lshr_b32 s34, ttmp7, 16
	s_wait_kmcnt 0x0
	s_cmp_ge_u32 s34, s33
	s_cbranch_scc1 .LBB31_26
; %bb.2:
	s_clause 0x1
	s_load_b96 s[36:38], s[0:1], 0x0
	s_load_b256 s[20:27], s[0:1], 0x50
	v_and_b32_e32 v15, 0x3ff, v0
	v_bfe_u32 v16, v0, 10, 10
	s_load_b128 s[28:31], s[0:1], 0x70
	s_lshl_b64 s[10:11], s[10:11], 4
	s_delay_alu instid0(VALU_DEP_2) | instskip(NEXT) | instid1(VALU_DEP_2)
	v_lshl_add_u32 v0, ttmp9, 5, v15
	v_lshlrev_b32_e32 v2, 4, v16
	v_lshlrev_b32_e32 v17, 9, v15
	s_add_nc_u64 s[8:9], s[8:9], s[10:11]
	s_add_nc_u64 s[10:11], s[0:1], 0x88
	v_ashrrev_i32_e32 v1, 31, v0
	v_or_b32_e32 v18, 0x4000, v2
	v_add_nc_u32_e32 v19, v17, v2
	s_delay_alu instid0(VALU_DEP_3) | instskip(NEXT) | instid1(VALU_DEP_3)
	v_lshlrev_b64_e32 v[1:2], 4, v[0:1]
	v_add_nc_u32_e32 v20, v18, v17
	s_wait_kmcnt 0x0
	s_bitcmp1_b32 s36, 0
	v_cmp_gt_i32_e64 s2, s37, v0
	s_cselect_b32 s3, -1, 0
	s_add_co_i32 s35, s38, -1
	s_lshl_b64 s[36:37], s[18:19], 4
	s_ashr_i32 s18, s35, 31
	s_lshl_b64 s[26:27], s[26:27], 4
	s_lshr_b32 s19, s18, 27
	s_wait_alu 0xfffe
	s_add_nc_u64 s[16:17], s[16:17], s[36:37]
	s_add_co_i32 s35, s35, s19
	s_add_nc_u64 s[26:27], s[24:25], s[26:27]
	v_add_co_u32 v21, vcc_lo, s16, v1
	s_and_b32 s18, ttmp7, 0xffff
	s_ashr_i32 s19, s35, 5
	v_add_co_ci_u32_e64 v22, null, s17, v2, vcc_lo
	v_add_co_u32 v23, vcc_lo, s26, v1
	s_cmp_le_i32 s18, s19
	s_wait_alu 0xfffd
	v_add_co_ci_u32_e64 v24, null, s27, v2, vcc_lo
	s_cselect_b32 s24, -1, 0
	s_cmp_gt_i32 s38, 0
	s_mov_b32 s35, 0
	s_cselect_b32 s25, -1, 0
	s_branch .LBB31_4
.LBB31_3:                               ;   in Loop: Header=BB31_4 Depth=1
	s_add_co_i32 s34, s34, 0x10000
	s_delay_alu instid0(SALU_CYCLE_1)
	s_cmp_lt_u32 s34, s33
	s_cbranch_scc0 .LBB31_26
.LBB31_4:                               ; =>This Loop Header: Depth=1
                                        ;     Child Loop BB31_7 Depth 2
                                        ;       Child Loop BB31_10 Depth 3
                                        ;         Child Loop BB31_24 Depth 4
	s_and_not1_b32 vcc_lo, exec_lo, s24
	s_wait_alu 0xfffe
	s_cbranch_vccnz .LBB31_3
; %bb.5:                                ;   in Loop: Header=BB31_4 Depth=1
	s_load_b32 s1, s[10:11], 0x4
	s_mul_u64 s[26:27], s[22:23], s[34:35]
	s_mul_u64 s[36:37], s[30:31], s[34:35]
	s_wait_alu 0xfffe
	s_lshl_b64 s[26:27], s[26:27], 4
	s_mul_u64 s[16:17], s[14:15], s[34:35]
	s_wait_alu 0xfffe
	v_add_co_u32 v25, vcc_lo, v21, s26
	s_wait_alu 0xfffd
	v_add_co_ci_u32_e64 v26, null, s27, v22, vcc_lo
	s_lshl_b64 s[26:27], s[36:37], 4
	s_lshl_b64 s[16:17], s[16:17], 4
	s_wait_alu 0xfffe
	v_add_co_u32 v27, vcc_lo, v23, s26
	s_wait_alu 0xfffd
	v_add_co_ci_u32_e64 v28, null, s27, v24, vcc_lo
	s_add_nc_u64 s[16:17], s[8:9], s[16:17]
	s_mov_b32 s26, s18
	s_branch .LBB31_7
.LBB31_6:                               ;   in Loop: Header=BB31_7 Depth=2
	s_wait_kmcnt 0x0
	s_add_co_i32 s26, s26, s1
	s_wait_alu 0xfffe
	s_cmp_gt_i32 s26, s19
	s_cbranch_scc1 .LBB31_3
.LBB31_7:                               ;   Parent Loop BB31_4 Depth=1
                                        ; =>  This Loop Header: Depth=2
                                        ;       Child Loop BB31_10 Depth 3
                                        ;         Child Loop BB31_24 Depth 4
	s_and_not1_b32 vcc_lo, exec_lo, s25
	s_wait_alu 0xfffe
	s_cbranch_vccnz .LBB31_6
; %bb.8:                                ;   in Loop: Header=BB31_7 Depth=2
	v_lshl_add_u32 v8, s26, 5, v16
	s_mov_b32 s36, 0
	s_delay_alu instid0(VALU_DEP_1) | instskip(SKIP_3) | instid1(VALU_DEP_4)
	v_ashrrev_i32_e32 v9, 31, v8
	v_mul_lo_u32 v4, s13, v8
	v_mad_co_u64_u32 v[0:1], null, s12, v8, 0
	v_mul_lo_u32 v6, s29, v8
	v_mul_lo_u32 v5, s12, v9
	v_mad_co_u64_u32 v[2:3], null, s28, v8, 0
	v_mul_lo_u32 v7, s28, v9
	v_cmp_gt_i32_e32 vcc_lo, s38, v8
	s_delay_alu instid0(VALU_DEP_4) | instskip(SKIP_2) | instid1(VALU_DEP_4)
	v_add3_u32 v1, v1, v5, v4
	v_lshlrev_b64_e32 v[4:5], 4, v[8:9]
	s_and_b32 s27, s2, vcc_lo
	v_add3_u32 v3, v3, v7, v6
	s_delay_alu instid0(VALU_DEP_3) | instskip(NEXT) | instid1(VALU_DEP_3)
	v_lshlrev_b64_e32 v[0:1], 4, v[0:1]
	v_add_co_u32 v29, s0, s16, v4
	s_delay_alu instid0(VALU_DEP_3) | instskip(SKIP_2) | instid1(VALU_DEP_4)
	v_lshlrev_b64_e32 v[2:3], 4, v[2:3]
	s_wait_alu 0xf1ff
	v_add_co_ci_u32_e64 v30, null, s17, v5, s0
	v_add_co_u32 v31, s0, s16, v0
	s_wait_alu 0xf1ff
	v_add_co_ci_u32_e64 v32, null, s17, v1, s0
	v_add_co_u32 v9, s0, v27, v2
	;; [unrolled: 3-line block ×3, first 2 shown]
	s_wait_alu 0xf1ff
	v_add_co_ci_u32_e64 v12, null, v32, v5, s0
	s_branch .LBB31_10
.LBB31_9:                               ;   in Loop: Header=BB31_10 Depth=3
	s_wait_alu 0xfffe
	s_or_b32 exec_lo, exec_lo, s0
	s_add_co_i32 s36, s36, 32
	s_wait_loadcnt 0x0
	s_wait_storecnt 0x0
	s_wait_alu 0xfffe
	s_cmp_ge_i32 s36, s38
	s_barrier_signal -1
	s_barrier_wait -1
	global_inv scope:SCOPE_SE
	s_cbranch_scc1 .LBB31_6
.LBB31_10:                              ;   Parent Loop BB31_4 Depth=1
                                        ;     Parent Loop BB31_7 Depth=2
                                        ; =>    This Loop Header: Depth=3
                                        ;         Child Loop BB31_24 Depth 4
	s_wait_alu 0xfffe
	v_add_nc_u32_e32 v2, s36, v16
	v_mov_b32_e32 v0, 0
	v_dual_mov_b32 v1, 0 :: v_dual_mov_b32 v4, 0
	v_mov_b32_e32 v6, 0
	s_delay_alu instid0(VALU_DEP_4)
	v_cmp_gt_i32_e32 vcc_lo, s38, v2
	v_mov_b32_e32 v5, 0
	v_mov_b32_e32 v7, 0
	s_and_b32 s37, s2, vcc_lo
	s_wait_alu 0xfffe
	s_and_saveexec_b32 s0, s37
	s_cbranch_execz .LBB31_12
; %bb.11:                               ;   in Loop: Header=BB31_10 Depth=3
	v_ashrrev_i32_e32 v4, 31, v2
	v_mul_lo_u32 v5, s21, v2
	v_mad_co_u64_u32 v[2:3], null, s20, v2, 0
	s_delay_alu instid0(VALU_DEP_3) | instskip(NEXT) | instid1(VALU_DEP_1)
	v_mul_lo_u32 v4, s20, v4
	v_add3_u32 v3, v3, v4, v5
	s_delay_alu instid0(VALU_DEP_1) | instskip(NEXT) | instid1(VALU_DEP_1)
	v_lshlrev_b64_e32 v[2:3], 4, v[2:3]
	v_add_co_u32 v2, vcc_lo, v25, v2
	s_wait_alu 0xfffd
	s_delay_alu instid0(VALU_DEP_2)
	v_add_co_ci_u32_e64 v3, null, v26, v3, vcc_lo
	global_load_b128 v[4:7], v[2:3], off
.LBB31_12:                              ;   in Loop: Header=BB31_10 Depth=3
	s_wait_alu 0xfffe
	s_or_b32 exec_lo, exec_lo, s0
	v_add_nc_u32_e32 v13, s36, v15
	s_mov_b32 s37, exec_lo
	s_wait_loadcnt 0x0
	ds_store_b128 v19, v[4:7]
	v_cndmask_b32_e64 v2, v8, v13, s3
	v_cndmask_b32_e64 v3, v13, v8, s3
	s_delay_alu instid0(VALU_DEP_1)
	v_cmp_gt_i32_e32 vcc_lo, v2, v3
	s_wait_alu 0xfffd
	v_dual_cndmask_b32 v14, v13, v8 :: v_dual_cndmask_b32 v33, v8, v13
	v_cmp_le_i32_e32 vcc_lo, v2, v3
	v_mov_b32_e32 v2, 0
	v_mov_b32_e32 v3, 0
	s_delay_alu instid0(VALU_DEP_4) | instskip(NEXT) | instid1(VALU_DEP_1)
	v_max_i32_e32 v14, v14, v33
	v_cmpx_gt_i32_e64 s38, v14
	s_cbranch_execz .LBB31_22
; %bb.13:                               ;   in Loop: Header=BB31_10 Depth=3
                                        ; implicit-def: $vgpr2_vgpr3
	s_and_saveexec_b32 s0, vcc_lo
	s_wait_alu 0xfffe
	s_xor_b32 s0, exec_lo, s0
	s_cbranch_execz .LBB31_19
; %bb.14:                               ;   in Loop: Header=BB31_10 Depth=3
	s_mov_b32 s39, exec_lo
                                        ; implicit-def: $vgpr2_vgpr3
	v_cmpx_ne_u32_e64 v13, v8
	s_wait_alu 0xfffe
	s_xor_b32 s39, exec_lo, s39
	s_cbranch_execz .LBB31_16
; %bb.15:                               ;   in Loop: Header=BB31_10 Depth=3
	v_ashrrev_i32_e32 v14, 31, v13
	s_delay_alu instid0(VALU_DEP_1) | instskip(NEXT) | instid1(VALU_DEP_1)
	v_lshlrev_b64_e32 v[0:1], 4, v[13:14]
	v_add_co_u32 v0, vcc_lo, v31, v0
	s_wait_alu 0xfffd
	s_delay_alu instid0(VALU_DEP_2)
	v_add_co_ci_u32_e64 v1, null, v32, v1, vcc_lo
	global_load_b128 v[0:3], v[0:1], off
.LBB31_16:                              ;   in Loop: Header=BB31_10 Depth=3
	s_wait_alu 0xfffe
	s_and_not1_saveexec_b32 s39, s39
	s_cbranch_execz .LBB31_18
; %bb.17:                               ;   in Loop: Header=BB31_10 Depth=3
	s_wait_loadcnt 0x0
	global_load_b64 v[0:1], v[11:12], off
	v_mov_b32_e32 v2, 0
	v_mov_b32_e32 v3, 0
.LBB31_18:                              ;   in Loop: Header=BB31_10 Depth=3
	s_wait_alu 0xfffe
	s_or_b32 exec_lo, exec_lo, s39
                                        ; implicit-def: $vgpr13
.LBB31_19:                              ;   in Loop: Header=BB31_10 Depth=3
	s_wait_alu 0xfffe
	s_and_not1_saveexec_b32 s0, s0
	s_cbranch_execz .LBB31_21
; %bb.20:                               ;   in Loop: Header=BB31_10 Depth=3
	s_wait_loadcnt 0x0
	v_ashrrev_i32_e32 v2, 31, v13
	v_mul_lo_u32 v3, s13, v13
	v_mad_co_u64_u32 v[0:1], null, s12, v13, 0
	s_delay_alu instid0(VALU_DEP_3) | instskip(NEXT) | instid1(VALU_DEP_1)
	v_mul_lo_u32 v2, s12, v2
	v_add3_u32 v1, v1, v2, v3
	s_delay_alu instid0(VALU_DEP_1) | instskip(NEXT) | instid1(VALU_DEP_1)
	v_lshlrev_b64_e32 v[0:1], 4, v[0:1]
	v_add_co_u32 v0, vcc_lo, v29, v0
	s_wait_alu 0xfffd
	s_delay_alu instid0(VALU_DEP_2)
	v_add_co_ci_u32_e64 v1, null, v30, v1, vcc_lo
	global_load_b128 v[0:3], v[0:1], off
	s_wait_loadcnt 0x0
	v_xor_b32_e32 v3, 0x80000000, v3
.LBB31_21:                              ;   in Loop: Header=BB31_10 Depth=3
	s_wait_alu 0xfffe
	s_or_b32 exec_lo, exec_lo, s0
.LBB31_22:                              ;   in Loop: Header=BB31_10 Depth=3
	s_wait_alu 0xfffe
	s_or_b32 exec_lo, exec_lo, s37
	s_wait_loadcnt 0x0
	ds_store_b128 v20, v[0:3]
	s_wait_dscnt 0x0
	s_barrier_signal -1
	s_barrier_wait -1
	global_inv scope:SCOPE_SE
	s_and_saveexec_b32 s0, s27
	s_cbranch_execz .LBB31_9
; %bb.23:                               ;   in Loop: Header=BB31_10 Depth=3
	v_mov_b32_e32 v0, 0
	v_dual_mov_b32 v1, 0 :: v_dual_mov_b32 v2, 0
	v_dual_mov_b32 v3, 0 :: v_dual_mov_b32 v4, v18
	s_mov_b32 s37, 0
.LBB31_24:                              ;   Parent Loop BB31_4 Depth=1
                                        ;     Parent Loop BB31_7 Depth=2
                                        ;       Parent Loop BB31_10 Depth=3
                                        ; =>      This Inner Loop Header: Depth=4
	s_wait_alu 0xfffe
	v_add_nc_u32_e32 v7, s37, v17
	s_addk_co_i32 s37, 0x80
	ds_load_b128 v[33:36], v4
	ds_load_b128 v[37:40], v7
	ds_load_b128 v[41:44], v4 offset:512
	ds_load_b128 v[45:48], v7 offset:16
	s_wait_alu 0xfffe
	s_cmp_eq_u32 s37, 0x200
	s_wait_dscnt 0x2
	v_mul_f64_e32 v[5:6], v[35:36], v[39:40]
	v_mul_f64_e32 v[13:14], v[33:34], v[39:40]
	s_wait_dscnt 0x0
	v_mul_f64_e32 v[55:56], v[43:44], v[47:48]
	v_mul_f64_e32 v[57:58], v[41:42], v[47:48]
	s_delay_alu instid0(VALU_DEP_4) | instskip(NEXT) | instid1(VALU_DEP_4)
	v_fma_f64 v[5:6], v[33:34], v[37:38], -v[5:6]
	v_fma_f64 v[13:14], v[35:36], v[37:38], v[13:14]
	ds_load_b128 v[33:36], v4 offset:1024
	ds_load_b128 v[37:40], v7 offset:32
	;; [unrolled: 1-line block ×4, first 2 shown]
	v_fma_f64 v[41:42], v[41:42], v[45:46], -v[55:56]
	v_fma_f64 v[43:44], v[43:44], v[45:46], v[57:58]
	s_wait_dscnt 0x2
	v_mul_f64_e32 v[59:60], v[35:36], v[39:40]
	v_mul_f64_e32 v[39:40], v[33:34], v[39:40]
	v_add_f64_e32 v[0:1], v[0:1], v[5:6]
	v_add_f64_e32 v[2:3], v[2:3], v[13:14]
	s_wait_dscnt 0x0
	v_mul_f64_e32 v[5:6], v[49:50], v[53:54]
	v_mul_f64_e32 v[13:14], v[47:48], v[53:54]
	v_fma_f64 v[45:46], v[33:34], v[37:38], -v[59:60]
	v_fma_f64 v[53:54], v[35:36], v[37:38], v[39:40]
	v_add_f64_e32 v[55:56], v[0:1], v[41:42]
	v_add_f64_e32 v[57:58], v[2:3], v[43:44]
	ds_load_b128 v[0:3], v4 offset:2048
	ds_load_b128 v[33:36], v7 offset:64
	;; [unrolled: 1-line block ×4, first 2 shown]
	v_fma_f64 v[5:6], v[47:48], v[51:52], -v[5:6]
	v_fma_f64 v[13:14], v[49:50], v[51:52], v[13:14]
	s_wait_dscnt 0x2
	v_mul_f64_e32 v[59:60], v[2:3], v[35:36]
	v_mul_f64_e32 v[35:36], v[0:1], v[35:36]
	s_wait_dscnt 0x0
	v_mul_f64_e32 v[51:52], v[39:40], v[43:44]
	v_add_f64_e32 v[45:46], v[55:56], v[45:46]
	v_add_f64_e32 v[47:48], v[57:58], v[53:54]
	v_mul_f64_e32 v[53:54], v[37:38], v[43:44]
	v_fma_f64 v[55:56], v[0:1], v[33:34], -v[59:60]
	v_fma_f64 v[57:58], v[2:3], v[33:34], v[35:36]
	v_fma_f64 v[37:38], v[37:38], v[41:42], -v[51:52]
	v_add_f64_e32 v[5:6], v[45:46], v[5:6]
	v_add_f64_e32 v[13:14], v[47:48], v[13:14]
	ds_load_b128 v[0:3], v4 offset:3072
	ds_load_b128 v[33:36], v7 offset:96
	;; [unrolled: 1-line block ×4, first 2 shown]
	v_fma_f64 v[39:40], v[39:40], v[41:42], v[53:54]
	v_add_nc_u32_e32 v4, 0x1000, v4
	s_wait_dscnt 0x2
	v_mul_f64_e32 v[59:60], v[2:3], v[35:36]
	v_mul_f64_e32 v[35:36], v[0:1], v[35:36]
	s_wait_dscnt 0x0
	v_mul_f64_e32 v[41:42], v[45:46], v[49:50]
	v_mul_f64_e32 v[49:50], v[43:44], v[49:50]
	v_add_f64_e32 v[5:6], v[5:6], v[55:56]
	v_add_f64_e32 v[13:14], v[13:14], v[57:58]
	v_fma_f64 v[0:1], v[0:1], v[33:34], -v[59:60]
	v_fma_f64 v[2:3], v[2:3], v[33:34], v[35:36]
	v_fma_f64 v[33:34], v[43:44], v[47:48], -v[41:42]
	v_fma_f64 v[35:36], v[45:46], v[47:48], v[49:50]
	v_add_f64_e32 v[5:6], v[5:6], v[37:38]
	v_add_f64_e32 v[13:14], v[13:14], v[39:40]
	s_delay_alu instid0(VALU_DEP_2) | instskip(NEXT) | instid1(VALU_DEP_2)
	v_add_f64_e32 v[0:1], v[5:6], v[0:1]
	v_add_f64_e32 v[2:3], v[13:14], v[2:3]
	s_delay_alu instid0(VALU_DEP_2) | instskip(NEXT) | instid1(VALU_DEP_2)
	v_add_f64_e32 v[0:1], v[0:1], v[33:34]
	v_add_f64_e32 v[2:3], v[2:3], v[35:36]
	s_cbranch_scc0 .LBB31_24
; %bb.25:                               ;   in Loop: Header=BB31_10 Depth=3
	global_load_b128 v[4:7], v[9:10], off
	v_mul_f64_e32 v[13:14], s[6:7], v[2:3]
	v_mul_f64_e32 v[33:34], s[6:7], v[0:1]
	s_delay_alu instid0(VALU_DEP_2) | instskip(NEXT) | instid1(VALU_DEP_2)
	v_fma_f64 v[0:1], s[4:5], v[0:1], -v[13:14]
	v_fma_f64 v[2:3], s[4:5], v[2:3], v[33:34]
	s_wait_loadcnt 0x0
	s_delay_alu instid0(VALU_DEP_2) | instskip(NEXT) | instid1(VALU_DEP_2)
	v_add_f64_e32 v[0:1], v[0:1], v[4:5]
	v_add_f64_e32 v[2:3], v[2:3], v[6:7]
	global_store_b128 v[9:10], v[0:3], off
	s_branch .LBB31_9
.LBB31_26:
	s_endpgm
	.section	.rodata,"a",@progbits
	.p2align	6, 0x0
	.amdhsa_kernel _ZL24rocblas_symm_hemm_kernelILb1ELb1ELi32E19rocblas_complex_numIdEPKS1_PS1_EvbiiT2_T3_lllS6_lllT4_llli
		.amdhsa_group_segment_fixed_size 32768
		.amdhsa_private_segment_fixed_size 0
		.amdhsa_kernarg_size 392
		.amdhsa_user_sgpr_count 2
		.amdhsa_user_sgpr_dispatch_ptr 0
		.amdhsa_user_sgpr_queue_ptr 0
		.amdhsa_user_sgpr_kernarg_segment_ptr 1
		.amdhsa_user_sgpr_dispatch_id 0
		.amdhsa_user_sgpr_private_segment_size 0
		.amdhsa_wavefront_size32 1
		.amdhsa_uses_dynamic_stack 0
		.amdhsa_enable_private_segment 0
		.amdhsa_system_sgpr_workgroup_id_x 1
		.amdhsa_system_sgpr_workgroup_id_y 1
		.amdhsa_system_sgpr_workgroup_id_z 1
		.amdhsa_system_sgpr_workgroup_info 0
		.amdhsa_system_vgpr_workitem_id 1
		.amdhsa_next_free_vgpr 61
		.amdhsa_next_free_sgpr 40
		.amdhsa_reserve_vcc 1
		.amdhsa_float_round_mode_32 0
		.amdhsa_float_round_mode_16_64 0
		.amdhsa_float_denorm_mode_32 3
		.amdhsa_float_denorm_mode_16_64 3
		.amdhsa_fp16_overflow 0
		.amdhsa_workgroup_processor_mode 1
		.amdhsa_memory_ordered 1
		.amdhsa_forward_progress 1
		.amdhsa_inst_pref_size 15
		.amdhsa_round_robin_scheduling 0
		.amdhsa_exception_fp_ieee_invalid_op 0
		.amdhsa_exception_fp_denorm_src 0
		.amdhsa_exception_fp_ieee_div_zero 0
		.amdhsa_exception_fp_ieee_overflow 0
		.amdhsa_exception_fp_ieee_underflow 0
		.amdhsa_exception_fp_ieee_inexact 0
		.amdhsa_exception_int_div_zero 0
	.end_amdhsa_kernel
	.section	.text._ZL24rocblas_symm_hemm_kernelILb1ELb1ELi32E19rocblas_complex_numIdEPKS1_PS1_EvbiiT2_T3_lllS6_lllT4_llli,"axG",@progbits,_ZL24rocblas_symm_hemm_kernelILb1ELb1ELi32E19rocblas_complex_numIdEPKS1_PS1_EvbiiT2_T3_lllS6_lllT4_llli,comdat
.Lfunc_end31:
	.size	_ZL24rocblas_symm_hemm_kernelILb1ELb1ELi32E19rocblas_complex_numIdEPKS1_PS1_EvbiiT2_T3_lllS6_lllT4_llli, .Lfunc_end31-_ZL24rocblas_symm_hemm_kernelILb1ELb1ELi32E19rocblas_complex_numIdEPKS1_PS1_EvbiiT2_T3_lllS6_lllT4_llli
                                        ; -- End function
	.set _ZL24rocblas_symm_hemm_kernelILb1ELb1ELi32E19rocblas_complex_numIdEPKS1_PS1_EvbiiT2_T3_lllS6_lllT4_llli.num_vgpr, 61
	.set _ZL24rocblas_symm_hemm_kernelILb1ELb1ELi32E19rocblas_complex_numIdEPKS1_PS1_EvbiiT2_T3_lllS6_lllT4_llli.num_agpr, 0
	.set _ZL24rocblas_symm_hemm_kernelILb1ELb1ELi32E19rocblas_complex_numIdEPKS1_PS1_EvbiiT2_T3_lllS6_lllT4_llli.numbered_sgpr, 40
	.set _ZL24rocblas_symm_hemm_kernelILb1ELb1ELi32E19rocblas_complex_numIdEPKS1_PS1_EvbiiT2_T3_lllS6_lllT4_llli.num_named_barrier, 0
	.set _ZL24rocblas_symm_hemm_kernelILb1ELb1ELi32E19rocblas_complex_numIdEPKS1_PS1_EvbiiT2_T3_lllS6_lllT4_llli.private_seg_size, 0
	.set _ZL24rocblas_symm_hemm_kernelILb1ELb1ELi32E19rocblas_complex_numIdEPKS1_PS1_EvbiiT2_T3_lllS6_lllT4_llli.uses_vcc, 1
	.set _ZL24rocblas_symm_hemm_kernelILb1ELb1ELi32E19rocblas_complex_numIdEPKS1_PS1_EvbiiT2_T3_lllS6_lllT4_llli.uses_flat_scratch, 0
	.set _ZL24rocblas_symm_hemm_kernelILb1ELb1ELi32E19rocblas_complex_numIdEPKS1_PS1_EvbiiT2_T3_lllS6_lllT4_llli.has_dyn_sized_stack, 0
	.set _ZL24rocblas_symm_hemm_kernelILb1ELb1ELi32E19rocblas_complex_numIdEPKS1_PS1_EvbiiT2_T3_lllS6_lllT4_llli.has_recursion, 0
	.set _ZL24rocblas_symm_hemm_kernelILb1ELb1ELi32E19rocblas_complex_numIdEPKS1_PS1_EvbiiT2_T3_lllS6_lllT4_llli.has_indirect_call, 0
	.section	.AMDGPU.csdata,"",@progbits
; Kernel info:
; codeLenInByte = 1820
; TotalNumSgprs: 42
; NumVgprs: 61
; ScratchSize: 0
; MemoryBound: 1
; FloatMode: 240
; IeeeMode: 1
; LDSByteSize: 32768 bytes/workgroup (compile time only)
; SGPRBlocks: 0
; VGPRBlocks: 7
; NumSGPRsForWavesPerEU: 42
; NumVGPRsForWavesPerEU: 61
; Occupancy: 16
; WaveLimiterHint : 1
; COMPUTE_PGM_RSRC2:SCRATCH_EN: 0
; COMPUTE_PGM_RSRC2:USER_SGPR: 2
; COMPUTE_PGM_RSRC2:TRAP_HANDLER: 0
; COMPUTE_PGM_RSRC2:TGID_X_EN: 1
; COMPUTE_PGM_RSRC2:TGID_Y_EN: 1
; COMPUTE_PGM_RSRC2:TGID_Z_EN: 1
; COMPUTE_PGM_RSRC2:TIDIG_COMP_CNT: 1
	.section	.text._ZL25rocblas_symm_scale_kernelILi128ELi8EPKfPKPfEviiT1_T2_llli,"axG",@progbits,_ZL25rocblas_symm_scale_kernelILi128ELi8EPKfPKPfEviiT1_T2_llli,comdat
	.globl	_ZL25rocblas_symm_scale_kernelILi128ELi8EPKfPKPfEviiT1_T2_llli ; -- Begin function _ZL25rocblas_symm_scale_kernelILi128ELi8EPKfPKPfEviiT1_T2_llli
	.p2align	8
	.type	_ZL25rocblas_symm_scale_kernelILi128ELi8EPKfPKPfEviiT1_T2_llli,@function
_ZL25rocblas_symm_scale_kernelILi128ELi8EPKfPKPfEviiT1_T2_llli: ; @_ZL25rocblas_symm_scale_kernelILi128ELi8EPKfPKPfEviiT1_T2_llli
; %bb.0:
	s_load_b256 s[4:11], s[0:1], 0x8
	s_wait_kmcnt 0x0
	s_load_b32 s16, s[4:5], 0x0
	s_wait_kmcnt 0x0
	s_cmp_eq_f32 s16, 1.0
	s_cbranch_scc1 .LBB32_10
; %bb.1:
	s_load_b32 s17, s[0:1], 0x30
	s_lshr_b32 s4, ttmp7, 16
	s_wait_kmcnt 0x0
	s_cmp_ge_u32 s4, s17
	s_cbranch_scc1 .LBB32_10
; %bb.2:
	v_bfe_u32 v1, v0, 10, 10
	s_load_b64 s[2:3], s[0:1], 0x0
	s_and_b32 s5, ttmp7, 0xffff
	v_and_b32_e32 v0, 0x3ff, v0
	v_mov_b32_e32 v2, 0
	v_lshl_add_u32 v1, s5, 3, v1
	s_delay_alu instid0(VALU_DEP_2) | instskip(NEXT) | instid1(VALU_DEP_2)
	v_mov_b32_e32 v6, v2
	v_mad_co_u64_u32 v[3:4], null, s10, v1, 0
	s_delay_alu instid0(VALU_DEP_1) | instskip(SKIP_4) | instid1(SALU_CYCLE_1)
	v_mad_co_u64_u32 v[4:5], null, s11, v1, v[4:5]
	v_lshl_add_u32 v5, ttmp9, 7, v0
	s_wait_kmcnt 0x0
	s_ashr_i32 s13, s3, 31
	s_mov_b32 s12, s3
	v_cmp_gt_i64_e32 vcc_lo, s[12:13], v[1:2]
	v_cmp_gt_u32_e64 s2, s2, v5
	s_delay_alu instid0(VALU_DEP_4)
	v_lshlrev_b64_e32 v[3:4], 2, v[3:4]
	v_lshlrev_b64_e32 v[5:6], 2, v[5:6]
	s_and_b32 s18, s2, vcc_lo
	s_cmp_neq_f32 s16, 0
	s_cselect_b32 s19, -1, 0
	s_lshl_b64 s[2:3], s[8:9], 2
	s_add_nc_u64 s[8:9], s[0:1], 56
	s_wait_alu 0xfffe
	v_add_co_u32 v0, vcc_lo, v3, s2
	s_delay_alu instid0(VALU_DEP_1)
	v_add_co_ci_u32_e64 v3, null, s3, v4, vcc_lo
	s_mov_b32 s3, 0
	v_add_co_u32 v0, vcc_lo, v0, v5
	s_wait_alu 0xfffd
	v_add_co_ci_u32_e64 v7, null, v3, v6, vcc_lo
	s_lshl_b64 s[10:11], s[10:11], 2
	s_branch .LBB32_4
.LBB32_3:                               ;   in Loop: Header=BB32_4 Depth=1
	s_wait_alu 0xfffe
	s_or_b32 exec_lo, exec_lo, s1
	s_add_co_i32 s4, s4, 0x10000
	s_wait_alu 0xfffe
	s_cmp_lt_u32 s4, s17
	s_cbranch_scc0 .LBB32_10
.LBB32_4:                               ; =>This Loop Header: Depth=1
                                        ;     Child Loop BB32_8 Depth 2
	s_and_saveexec_b32 s1, s18
	s_cbranch_execz .LBB32_3
; %bb.5:                                ;   in Loop: Header=BB32_4 Depth=1
	s_wait_alu 0xfffe
	s_mov_b32 s5, s3
	s_load_b32 s0, s[8:9], 0x4
	s_lshl_b64 s[14:15], s[4:5], 3
	v_dual_mov_b32 v6, v2 :: v_dual_mov_b32 v5, v1
	s_wait_alu 0xfffe
	s_add_nc_u64 s[14:15], s[6:7], s[14:15]
	s_mov_b32 s5, 0
	s_load_b64 s[14:15], s[14:15], 0x0
	s_wait_kmcnt 0x0
	s_lshl_b32 s2, s0, 3
	v_add_co_u32 v3, vcc_lo, s14, v0
	s_wait_alu 0xfffd
	v_add_co_ci_u32_e64 v4, null, s15, v7, vcc_lo
	s_wait_alu 0xfffe
	s_mul_u64 s[14:15], s[10:11], s[2:3]
	s_branch .LBB32_8
.LBB32_6:                               ;   in Loop: Header=BB32_8 Depth=2
	flat_load_b32 v8, v[3:4]
	s_wait_loadcnt_dscnt 0x0
	v_mul_f32_e32 v8, s16, v8
.LBB32_7:                               ;   in Loop: Header=BB32_8 Depth=2
	v_add_co_u32 v5, vcc_lo, v5, s2
	s_wait_alu 0xfffd
	v_add_co_ci_u32_e64 v6, null, 0, v6, vcc_lo
	flat_store_b32 v[3:4], v8
	v_add_co_u32 v3, s0, v3, s14
	v_cmp_le_i64_e32 vcc_lo, s[12:13], v[5:6]
	s_wait_alu 0xf1ff
	v_add_co_ci_u32_e64 v4, null, s15, v4, s0
	s_or_b32 s5, vcc_lo, s5
	s_wait_alu 0xfffe
	s_and_not1_b32 exec_lo, exec_lo, s5
	s_cbranch_execz .LBB32_3
.LBB32_8:                               ;   Parent Loop BB32_4 Depth=1
                                        ; =>  This Inner Loop Header: Depth=2
	s_and_not1_b32 vcc_lo, exec_lo, s19
	s_wait_alu 0xfffe
	s_cbranch_vccz .LBB32_6
; %bb.9:                                ;   in Loop: Header=BB32_8 Depth=2
	v_mov_b32_e32 v8, 0
	s_branch .LBB32_7
.LBB32_10:
	s_endpgm
	.section	.rodata,"a",@progbits
	.p2align	6, 0x0
	.amdhsa_kernel _ZL25rocblas_symm_scale_kernelILi128ELi8EPKfPKPfEviiT1_T2_llli
		.amdhsa_group_segment_fixed_size 0
		.amdhsa_private_segment_fixed_size 0
		.amdhsa_kernarg_size 312
		.amdhsa_user_sgpr_count 2
		.amdhsa_user_sgpr_dispatch_ptr 0
		.amdhsa_user_sgpr_queue_ptr 0
		.amdhsa_user_sgpr_kernarg_segment_ptr 1
		.amdhsa_user_sgpr_dispatch_id 0
		.amdhsa_user_sgpr_private_segment_size 0
		.amdhsa_wavefront_size32 1
		.amdhsa_uses_dynamic_stack 0
		.amdhsa_enable_private_segment 0
		.amdhsa_system_sgpr_workgroup_id_x 1
		.amdhsa_system_sgpr_workgroup_id_y 1
		.amdhsa_system_sgpr_workgroup_id_z 1
		.amdhsa_system_sgpr_workgroup_info 0
		.amdhsa_system_vgpr_workitem_id 1
		.amdhsa_next_free_vgpr 9
		.amdhsa_next_free_sgpr 20
		.amdhsa_reserve_vcc 1
		.amdhsa_float_round_mode_32 0
		.amdhsa_float_round_mode_16_64 0
		.amdhsa_float_denorm_mode_32 3
		.amdhsa_float_denorm_mode_16_64 3
		.amdhsa_fp16_overflow 0
		.amdhsa_workgroup_processor_mode 1
		.amdhsa_memory_ordered 1
		.amdhsa_forward_progress 1
		.amdhsa_inst_pref_size 4
		.amdhsa_round_robin_scheduling 0
		.amdhsa_exception_fp_ieee_invalid_op 0
		.amdhsa_exception_fp_denorm_src 0
		.amdhsa_exception_fp_ieee_div_zero 0
		.amdhsa_exception_fp_ieee_overflow 0
		.amdhsa_exception_fp_ieee_underflow 0
		.amdhsa_exception_fp_ieee_inexact 0
		.amdhsa_exception_int_div_zero 0
	.end_amdhsa_kernel
	.section	.text._ZL25rocblas_symm_scale_kernelILi128ELi8EPKfPKPfEviiT1_T2_llli,"axG",@progbits,_ZL25rocblas_symm_scale_kernelILi128ELi8EPKfPKPfEviiT1_T2_llli,comdat
.Lfunc_end32:
	.size	_ZL25rocblas_symm_scale_kernelILi128ELi8EPKfPKPfEviiT1_T2_llli, .Lfunc_end32-_ZL25rocblas_symm_scale_kernelILi128ELi8EPKfPKPfEviiT1_T2_llli
                                        ; -- End function
	.set _ZL25rocblas_symm_scale_kernelILi128ELi8EPKfPKPfEviiT1_T2_llli.num_vgpr, 9
	.set _ZL25rocblas_symm_scale_kernelILi128ELi8EPKfPKPfEviiT1_T2_llli.num_agpr, 0
	.set _ZL25rocblas_symm_scale_kernelILi128ELi8EPKfPKPfEviiT1_T2_llli.numbered_sgpr, 20
	.set _ZL25rocblas_symm_scale_kernelILi128ELi8EPKfPKPfEviiT1_T2_llli.num_named_barrier, 0
	.set _ZL25rocblas_symm_scale_kernelILi128ELi8EPKfPKPfEviiT1_T2_llli.private_seg_size, 0
	.set _ZL25rocblas_symm_scale_kernelILi128ELi8EPKfPKPfEviiT1_T2_llli.uses_vcc, 1
	.set _ZL25rocblas_symm_scale_kernelILi128ELi8EPKfPKPfEviiT1_T2_llli.uses_flat_scratch, 0
	.set _ZL25rocblas_symm_scale_kernelILi128ELi8EPKfPKPfEviiT1_T2_llli.has_dyn_sized_stack, 0
	.set _ZL25rocblas_symm_scale_kernelILi128ELi8EPKfPKPfEviiT1_T2_llli.has_recursion, 0
	.set _ZL25rocblas_symm_scale_kernelILi128ELi8EPKfPKPfEviiT1_T2_llli.has_indirect_call, 0
	.section	.AMDGPU.csdata,"",@progbits
; Kernel info:
; codeLenInByte = 488
; TotalNumSgprs: 22
; NumVgprs: 9
; ScratchSize: 0
; MemoryBound: 0
; FloatMode: 240
; IeeeMode: 1
; LDSByteSize: 0 bytes/workgroup (compile time only)
; SGPRBlocks: 0
; VGPRBlocks: 1
; NumSGPRsForWavesPerEU: 22
; NumVGPRsForWavesPerEU: 9
; Occupancy: 16
; WaveLimiterHint : 0
; COMPUTE_PGM_RSRC2:SCRATCH_EN: 0
; COMPUTE_PGM_RSRC2:USER_SGPR: 2
; COMPUTE_PGM_RSRC2:TRAP_HANDLER: 0
; COMPUTE_PGM_RSRC2:TGID_X_EN: 1
; COMPUTE_PGM_RSRC2:TGID_Y_EN: 1
; COMPUTE_PGM_RSRC2:TGID_Z_EN: 1
; COMPUTE_PGM_RSRC2:TIDIG_COMP_CNT: 1
	.section	.text._ZL24rocblas_symm_hemm_kernelILb0ELb0ELi32EPKfPKS1_PKPfEvbiiT2_T3_lllS8_lllT4_llli,"axG",@progbits,_ZL24rocblas_symm_hemm_kernelILb0ELb0ELi32EPKfPKS1_PKPfEvbiiT2_T3_lllS8_lllT4_llli,comdat
	.globl	_ZL24rocblas_symm_hemm_kernelILb0ELb0ELi32EPKfPKS1_PKPfEvbiiT2_T3_lllS8_lllT4_llli ; -- Begin function _ZL24rocblas_symm_hemm_kernelILb0ELb0ELi32EPKfPKS1_PKPfEvbiiT2_T3_lllS8_lllT4_llli
	.p2align	8
	.type	_ZL24rocblas_symm_hemm_kernelILb0ELb0ELi32EPKfPKS1_PKPfEvbiiT2_T3_lllS8_lllT4_llli,@function
_ZL24rocblas_symm_hemm_kernelILb0ELb0ELi32EPKfPKS1_PKPfEvbiiT2_T3_lllS8_lllT4_llli: ; @_ZL24rocblas_symm_hemm_kernelILb0ELb0ELi32EPKfPKS1_PKPfEvbiiT2_T3_lllS8_lllT4_llli
; %bb.0:
	s_load_b256 s[4:11], s[0:1], 0x10
	s_wait_kmcnt 0x0
	s_load_b32 s3, s[4:5], 0x0
	s_wait_kmcnt 0x0
	s_cmp_eq_f32 s3, 0
	s_cbranch_scc1 .LBB33_16
; %bb.1:
	s_load_b32 s23, s[0:1], 0x78
	s_lshr_b32 s4, ttmp7, 16
	s_wait_kmcnt 0x0
	s_cmp_ge_u32 s4, s23
	s_cbranch_scc1 .LBB33_16
; %bb.2:
	s_clause 0x4
	s_load_b96 s[20:22], s[0:1], 0x0
	s_load_b128 s[12:15], s[0:1], 0x38
	s_load_b64 s[24:25], s[0:1], 0x68
	s_load_b64 s[26:27], s[0:1], 0x48
	s_load_b128 s[16:19], s[0:1], 0x58
	v_and_b32_e32 v7, 0x3ff, v0
	v_bfe_u32 v8, v0, 10, 10
	s_add_nc_u64 s[28:29], s[0:1], 0x80
	s_mov_b32 s5, 0
	s_delay_alu instid0(VALU_DEP_2) | instskip(NEXT) | instid1(VALU_DEP_2)
	v_lshlrev_b32_e32 v9, 7, v7
	v_lshlrev_b32_e32 v1, 2, v8
	v_lshl_add_u32 v0, ttmp9, 5, v7
	s_delay_alu instid0(VALU_DEP_2) | instskip(SKIP_1) | instid1(VALU_DEP_3)
	v_add_nc_u32_e32 v10, v9, v1
	v_or_b32_e32 v11, 0x1000, v1
	v_ashrrev_i32_e32 v1, 31, v0
	s_delay_alu instid0(VALU_DEP_2) | instskip(SKIP_2) | instid1(VALU_DEP_2)
	v_add_nc_u32_e32 v12, v11, v9
	s_wait_kmcnt 0x0
	s_bitcmp1_b32 s20, 0
	v_lshlrev_b64_e32 v[1:2], 2, v[0:1]
	s_cselect_b32 s0, -1, 0
	s_add_co_i32 s1, s22, -1
	s_wait_alu 0xfffe
	s_and_b32 s20, ttmp7, 0xffff
	s_ashr_i32 s2, s1, 31
	v_add_nc_u32_e32 v13, 0x400, v11
	s_lshr_b32 s2, s2, 27
	v_add_nc_u32_e32 v14, 0x800, v11
	s_add_co_i32 s1, s1, s2
	v_add_nc_u32_e32 v15, 0xc00, v11
	s_wait_alu 0xfffe
	s_ashr_i32 s33, s1, 5
	v_cmp_gt_i32_e64 s1, s21, v0
	s_cmp_le_i32 s20, s33
	s_cselect_b32 s36, -1, 0
	s_cmp_gt_i32 s21, 0
	s_cselect_b32 s37, -1, 0
	s_lshl_b64 s[8:9], s[8:9], 2
	s_lshl_b64 s[14:15], s[14:15], 2
	;; [unrolled: 1-line block ×3, first 2 shown]
	s_branch .LBB33_4
.LBB33_3:                               ;   in Loop: Header=BB33_4 Depth=1
	s_add_co_i32 s4, s4, 0x10000
	s_delay_alu instid0(SALU_CYCLE_1)
	s_cmp_lt_u32 s4, s23
	s_cbranch_scc0 .LBB33_16
.LBB33_4:                               ; =>This Loop Header: Depth=1
                                        ;     Child Loop BB33_7 Depth 2
                                        ;       Child Loop BB33_10 Depth 3
	s_and_not1_b32 vcc_lo, exec_lo, s36
	s_wait_alu 0xfffe
	s_cbranch_vccnz .LBB33_3
; %bb.5:                                ;   in Loop: Header=BB33_4 Depth=1
	s_lshl_b64 s[30:31], s[4:5], 3
	s_wait_alu 0xfffe
	s_add_nc_u64 s[34:35], s[16:17], s[30:31]
	s_add_nc_u64 s[38:39], s[6:7], s[30:31]
	s_load_b64 s[34:35], s[34:35], 0x0
	s_add_nc_u64 s[30:31], s[12:13], s[30:31]
	s_load_b64 s[40:41], s[38:39], 0x0
	s_load_b64 s[42:43], s[30:31], 0x0
	s_load_b32 s38, s[28:29], 0x4
	s_mov_b32 s39, s20
	s_wait_kmcnt 0x0
	s_add_nc_u64 s[30:31], s[34:35], s[18:19]
	s_add_nc_u64 s[34:35], s[42:43], s[14:15]
	s_wait_alu 0xfffe
	v_add_co_u32 v16, vcc_lo, s30, v1
	s_wait_alu 0xfffd
	v_add_co_ci_u32_e64 v17, null, s31, v2, vcc_lo
	s_add_nc_u64 s[30:31], s[40:41], s[8:9]
	s_branch .LBB33_7
.LBB33_6:                               ;   in Loop: Header=BB33_7 Depth=2
	s_add_co_i32 s39, s39, s38
	s_wait_alu 0xfffe
	s_cmp_gt_i32 s39, s33
	s_cbranch_scc1 .LBB33_3
.LBB33_7:                               ;   Parent Loop BB33_4 Depth=1
                                        ; =>  This Loop Header: Depth=2
                                        ;       Child Loop BB33_10 Depth 3
	s_and_not1_b32 vcc_lo, exec_lo, s37
	s_wait_alu 0xfffe
	s_cbranch_vccnz .LBB33_6
; %bb.8:                                ;   in Loop: Header=BB33_7 Depth=2
	v_lshl_add_u32 v18, s39, 5, v8
	s_mov_b32 s41, 0
	s_delay_alu instid0(VALU_DEP_1) | instskip(SKIP_3) | instid1(VALU_DEP_4)
	v_ashrrev_i32_e32 v19, 31, v18
	v_mul_lo_u32 v20, s27, v18
	v_mad_co_u64_u32 v[3:4], null, s26, v18, 0
	v_mul_lo_u32 v22, s25, v18
	v_mul_lo_u32 v21, s26, v19
	v_mad_co_u64_u32 v[5:6], null, s24, v18, 0
	v_mul_lo_u32 v19, s24, v19
	v_cmp_gt_i32_e32 vcc_lo, s22, v18
	s_delay_alu instid0(VALU_DEP_4) | instskip(SKIP_1) | instid1(VALU_DEP_3)
	v_add3_u32 v4, v4, v21, v20
	s_and_b32 s40, s1, vcc_lo
	v_add3_u32 v6, v6, v19, v22
	s_delay_alu instid0(VALU_DEP_2) | instskip(NEXT) | instid1(VALU_DEP_2)
	v_lshlrev_b64_e32 v[3:4], 2, v[3:4]
	v_lshlrev_b64_e32 v[5:6], 2, v[5:6]
	s_delay_alu instid0(VALU_DEP_2) | instskip(SKIP_1) | instid1(VALU_DEP_3)
	v_add_co_u32 v18, s2, s34, v3
	s_wait_alu 0xf1ff
	v_add_co_ci_u32_e64 v19, null, s35, v4, s2
	s_delay_alu instid0(VALU_DEP_3)
	v_add_co_u32 v3, s2, v16, v5
	s_wait_alu 0xf1ff
	v_add_co_ci_u32_e64 v4, null, v17, v6, s2
	s_branch .LBB33_10
.LBB33_9:                               ;   in Loop: Header=BB33_10 Depth=3
	s_wait_alu 0xfffe
	s_or_b32 exec_lo, exec_lo, s2
	s_add_co_i32 s41, s41, 32
	s_wait_storecnt 0x0
	s_wait_loadcnt_dscnt 0x0
	s_wait_alu 0xfffe
	s_cmp_ge_i32 s41, s21
	s_barrier_signal -1
	s_barrier_wait -1
	global_inv scope:SCOPE_SE
	s_cbranch_scc1 .LBB33_6
.LBB33_10:                              ;   Parent Loop BB33_4 Depth=1
                                        ;     Parent Loop BB33_7 Depth=2
                                        ; =>    This Inner Loop Header: Depth=3
	s_wait_alu 0xfffe
	v_add_nc_u32_e32 v6, s41, v8
	s_delay_alu instid0(VALU_DEP_1) | instskip(SKIP_1) | instid1(VALU_DEP_1)
	v_cndmask_b32_e64 v5, v6, v0, s0
	v_cndmask_b32_e64 v20, v0, v6, s0
	v_cmp_gt_i32_e64 s2, v5, v20
	v_mov_b32_e32 v20, 0
	s_wait_alu 0xf1ff
	s_delay_alu instid0(VALU_DEP_2) | instskip(SKIP_1) | instid1(VALU_DEP_1)
	v_cndmask_b32_e64 v5, v0, v6, s2
	v_cndmask_b32_e64 v6, v6, v0, s2
	v_max_i32_e32 v21, v5, v6
	s_delay_alu instid0(VALU_DEP_1)
	v_cmp_gt_i32_e64 s2, s21, v21
	v_mov_b32_e32 v21, 0
	s_and_saveexec_b32 s42, s2
	s_cbranch_execz .LBB33_12
; %bb.11:                               ;   in Loop: Header=BB33_10 Depth=3
	v_ashrrev_i32_e32 v23, 31, v6
	v_mul_lo_u32 v24, s11, v6
	v_mad_co_u64_u32 v[21:22], null, s10, v6, 0
	s_delay_alu instid0(VALU_DEP_3) | instskip(NEXT) | instid1(VALU_DEP_1)
	v_mul_lo_u32 v6, s10, v23
	v_add3_u32 v22, v22, v6, v24
	v_ashrrev_i32_e32 v6, 31, v5
	s_delay_alu instid0(VALU_DEP_2) | instskip(NEXT) | instid1(VALU_DEP_2)
	v_lshlrev_b64_e32 v[21:22], 2, v[21:22]
	v_lshlrev_b64_e32 v[5:6], 2, v[5:6]
	s_delay_alu instid0(VALU_DEP_2) | instskip(SKIP_1) | instid1(VALU_DEP_3)
	v_add_co_u32 v21, s2, s30, v21
	s_wait_alu 0xf1ff
	v_add_co_ci_u32_e64 v22, null, s31, v22, s2
	s_delay_alu instid0(VALU_DEP_2) | instskip(SKIP_1) | instid1(VALU_DEP_2)
	v_add_co_u32 v5, s2, v21, v5
	s_wait_alu 0xf1ff
	v_add_co_ci_u32_e64 v6, null, v22, v6, s2
	flat_load_b32 v21, v[5:6]
.LBB33_12:                              ;   in Loop: Header=BB33_10 Depth=3
	s_or_b32 exec_lo, exec_lo, s42
	v_add_nc_u32_e32 v5, s41, v7
	s_wait_loadcnt_dscnt 0x0
	ds_store_b32 v10, v21
	v_cmp_gt_i32_e64 s2, s21, v5
	s_and_b32 s2, s2, vcc_lo
	s_wait_alu 0xfffe
	s_and_saveexec_b32 s42, s2
	s_cbranch_execz .LBB33_14
; %bb.13:                               ;   in Loop: Header=BB33_10 Depth=3
	v_ashrrev_i32_e32 v6, 31, v5
	s_delay_alu instid0(VALU_DEP_1) | instskip(NEXT) | instid1(VALU_DEP_1)
	v_lshlrev_b64_e32 v[5:6], 2, v[5:6]
	v_add_co_u32 v5, s2, v18, v5
	s_wait_alu 0xf1ff
	s_delay_alu instid0(VALU_DEP_2)
	v_add_co_ci_u32_e64 v6, null, v19, v6, s2
	flat_load_b32 v20, v[5:6]
.LBB33_14:                              ;   in Loop: Header=BB33_10 Depth=3
	s_or_b32 exec_lo, exec_lo, s42
	s_wait_loadcnt_dscnt 0x0
	ds_store_b32 v12, v20
	s_wait_dscnt 0x0
	s_barrier_signal -1
	s_barrier_wait -1
	global_inv scope:SCOPE_SE
	s_and_saveexec_b32 s2, s40
	s_cbranch_execz .LBB33_9
; %bb.15:                               ;   in Loop: Header=BB33_10 Depth=3
	flat_load_b32 v32, v[3:4]
	ds_load_b128 v[20:23], v9
	ds_load_2addr_b32 v[5:6], v11 offset1:32
	ds_load_2addr_b32 v[28:29], v11 offset0:64 offset1:96
	ds_load_b128 v[24:27], v9 offset:16
	ds_load_2addr_b32 v[30:31], v11 offset0:128 offset1:160
	s_wait_dscnt 0x3
	v_fma_f32 v33, v20, v5, 0
	s_delay_alu instid0(VALU_DEP_1) | instskip(SKIP_3) | instid1(VALU_DEP_1)
	v_fmac_f32_e32 v33, v21, v6
	ds_load_2addr_b32 v[5:6], v11 offset0:192 offset1:224
	s_wait_dscnt 0x3
	v_fmac_f32_e32 v33, v22, v28
	v_fmac_f32_e32 v33, v23, v29
	ds_load_b128 v[20:23], v9 offset:32
	ds_load_2addr_b32 v[28:29], v13 offset1:32
	s_wait_dscnt 0x3
	v_fmac_f32_e32 v33, v24, v30
	s_delay_alu instid0(VALU_DEP_1) | instskip(SKIP_3) | instid1(VALU_DEP_1)
	v_fmac_f32_e32 v33, v25, v31
	ds_load_2addr_b32 v[30:31], v13 offset0:64 offset1:96
	s_wait_dscnt 0x3
	v_fmac_f32_e32 v33, v26, v5
	v_fmac_f32_e32 v33, v27, v6
	ds_load_b128 v[24:27], v9 offset:48
	ds_load_2addr_b32 v[5:6], v13 offset0:128 offset1:160
	s_wait_dscnt 0x3
	v_fmac_f32_e32 v33, v20, v28
	s_delay_alu instid0(VALU_DEP_1) | instskip(SKIP_3) | instid1(VALU_DEP_1)
	v_fmac_f32_e32 v33, v21, v29
	ds_load_2addr_b32 v[28:29], v13 offset0:192 offset1:224
	s_wait_dscnt 0x3
	v_fmac_f32_e32 v33, v22, v30
	v_fmac_f32_e32 v33, v23, v31
	ds_load_b128 v[20:23], v9 offset:64
	ds_load_2addr_b32 v[30:31], v14 offset1:32
	s_wait_dscnt 0x3
	v_fmac_f32_e32 v33, v24, v5
	s_delay_alu instid0(VALU_DEP_1) | instskip(SKIP_3) | instid1(VALU_DEP_1)
	v_fmac_f32_e32 v33, v25, v6
	ds_load_2addr_b32 v[5:6], v14 offset0:64 offset1:96
	s_wait_dscnt 0x3
	v_fmac_f32_e32 v33, v26, v28
	v_fmac_f32_e32 v33, v27, v29
	ds_load_b128 v[24:27], v9 offset:80
	ds_load_2addr_b32 v[28:29], v14 offset0:128 offset1:160
	s_wait_dscnt 0x3
	v_fmac_f32_e32 v33, v20, v30
	;; [unrolled: 20-line block ×3, first 2 shown]
	s_delay_alu instid0(VALU_DEP_1) | instskip(SKIP_3) | instid1(VALU_DEP_1)
	v_fmac_f32_e32 v33, v21, v6
	ds_load_2addr_b32 v[5:6], v15 offset0:192 offset1:224
	s_wait_dscnt 0x3
	v_fmac_f32_e32 v33, v22, v28
	v_fmac_f32_e32 v33, v23, v29
	s_wait_dscnt 0x1
	s_delay_alu instid0(VALU_DEP_1) | instskip(NEXT) | instid1(VALU_DEP_1)
	v_fmac_f32_e32 v33, v24, v30
	v_fmac_f32_e32 v33, v25, v31
	s_wait_dscnt 0x0
	s_delay_alu instid0(VALU_DEP_1) | instskip(NEXT) | instid1(VALU_DEP_1)
	v_fmac_f32_e32 v33, v26, v5
	v_fmac_f32_e32 v33, v27, v6
	s_wait_loadcnt 0x0
	s_delay_alu instid0(VALU_DEP_1)
	v_fmac_f32_e32 v32, s3, v33
	flat_store_b32 v[3:4], v32
	s_branch .LBB33_9
.LBB33_16:
	s_endpgm
	.section	.rodata,"a",@progbits
	.p2align	6, 0x0
	.amdhsa_kernel _ZL24rocblas_symm_hemm_kernelILb0ELb0ELi32EPKfPKS1_PKPfEvbiiT2_T3_lllS8_lllT4_llli
		.amdhsa_group_segment_fixed_size 8192
		.amdhsa_private_segment_fixed_size 0
		.amdhsa_kernarg_size 384
		.amdhsa_user_sgpr_count 2
		.amdhsa_user_sgpr_dispatch_ptr 0
		.amdhsa_user_sgpr_queue_ptr 0
		.amdhsa_user_sgpr_kernarg_segment_ptr 1
		.amdhsa_user_sgpr_dispatch_id 0
		.amdhsa_user_sgpr_private_segment_size 0
		.amdhsa_wavefront_size32 1
		.amdhsa_uses_dynamic_stack 0
		.amdhsa_enable_private_segment 0
		.amdhsa_system_sgpr_workgroup_id_x 1
		.amdhsa_system_sgpr_workgroup_id_y 1
		.amdhsa_system_sgpr_workgroup_id_z 1
		.amdhsa_system_sgpr_workgroup_info 0
		.amdhsa_system_vgpr_workitem_id 1
		.amdhsa_next_free_vgpr 34
		.amdhsa_next_free_sgpr 44
		.amdhsa_reserve_vcc 1
		.amdhsa_float_round_mode_32 0
		.amdhsa_float_round_mode_16_64 0
		.amdhsa_float_denorm_mode_32 3
		.amdhsa_float_denorm_mode_16_64 3
		.amdhsa_fp16_overflow 0
		.amdhsa_workgroup_processor_mode 1
		.amdhsa_memory_ordered 1
		.amdhsa_forward_progress 1
		.amdhsa_inst_pref_size 12
		.amdhsa_round_robin_scheduling 0
		.amdhsa_exception_fp_ieee_invalid_op 0
		.amdhsa_exception_fp_denorm_src 0
		.amdhsa_exception_fp_ieee_div_zero 0
		.amdhsa_exception_fp_ieee_overflow 0
		.amdhsa_exception_fp_ieee_underflow 0
		.amdhsa_exception_fp_ieee_inexact 0
		.amdhsa_exception_int_div_zero 0
	.end_amdhsa_kernel
	.section	.text._ZL24rocblas_symm_hemm_kernelILb0ELb0ELi32EPKfPKS1_PKPfEvbiiT2_T3_lllS8_lllT4_llli,"axG",@progbits,_ZL24rocblas_symm_hemm_kernelILb0ELb0ELi32EPKfPKS1_PKPfEvbiiT2_T3_lllS8_lllT4_llli,comdat
.Lfunc_end33:
	.size	_ZL24rocblas_symm_hemm_kernelILb0ELb0ELi32EPKfPKS1_PKPfEvbiiT2_T3_lllS8_lllT4_llli, .Lfunc_end33-_ZL24rocblas_symm_hemm_kernelILb0ELb0ELi32EPKfPKS1_PKPfEvbiiT2_T3_lllS8_lllT4_llli
                                        ; -- End function
	.set _ZL24rocblas_symm_hemm_kernelILb0ELb0ELi32EPKfPKS1_PKPfEvbiiT2_T3_lllS8_lllT4_llli.num_vgpr, 34
	.set _ZL24rocblas_symm_hemm_kernelILb0ELb0ELi32EPKfPKS1_PKPfEvbiiT2_T3_lllS8_lllT4_llli.num_agpr, 0
	.set _ZL24rocblas_symm_hemm_kernelILb0ELb0ELi32EPKfPKS1_PKPfEvbiiT2_T3_lllS8_lllT4_llli.numbered_sgpr, 44
	.set _ZL24rocblas_symm_hemm_kernelILb0ELb0ELi32EPKfPKS1_PKPfEvbiiT2_T3_lllS8_lllT4_llli.num_named_barrier, 0
	.set _ZL24rocblas_symm_hemm_kernelILb0ELb0ELi32EPKfPKS1_PKPfEvbiiT2_T3_lllS8_lllT4_llli.private_seg_size, 0
	.set _ZL24rocblas_symm_hemm_kernelILb0ELb0ELi32EPKfPKS1_PKPfEvbiiT2_T3_lllS8_lllT4_llli.uses_vcc, 1
	.set _ZL24rocblas_symm_hemm_kernelILb0ELb0ELi32EPKfPKS1_PKPfEvbiiT2_T3_lllS8_lllT4_llli.uses_flat_scratch, 0
	.set _ZL24rocblas_symm_hemm_kernelILb0ELb0ELi32EPKfPKS1_PKPfEvbiiT2_T3_lllS8_lllT4_llli.has_dyn_sized_stack, 0
	.set _ZL24rocblas_symm_hemm_kernelILb0ELb0ELi32EPKfPKS1_PKPfEvbiiT2_T3_lllS8_lllT4_llli.has_recursion, 0
	.set _ZL24rocblas_symm_hemm_kernelILb0ELb0ELi32EPKfPKS1_PKPfEvbiiT2_T3_lllS8_lllT4_llli.has_indirect_call, 0
	.section	.AMDGPU.csdata,"",@progbits
; Kernel info:
; codeLenInByte = 1480
; TotalNumSgprs: 46
; NumVgprs: 34
; ScratchSize: 0
; MemoryBound: 0
; FloatMode: 240
; IeeeMode: 1
; LDSByteSize: 8192 bytes/workgroup (compile time only)
; SGPRBlocks: 0
; VGPRBlocks: 4
; NumSGPRsForWavesPerEU: 46
; NumVGPRsForWavesPerEU: 34
; Occupancy: 16
; WaveLimiterHint : 1
; COMPUTE_PGM_RSRC2:SCRATCH_EN: 0
; COMPUTE_PGM_RSRC2:USER_SGPR: 2
; COMPUTE_PGM_RSRC2:TRAP_HANDLER: 0
; COMPUTE_PGM_RSRC2:TGID_X_EN: 1
; COMPUTE_PGM_RSRC2:TGID_Y_EN: 1
; COMPUTE_PGM_RSRC2:TGID_Z_EN: 1
; COMPUTE_PGM_RSRC2:TIDIG_COMP_CNT: 1
	.section	.text._ZL24rocblas_symm_hemm_kernelILb0ELb1ELi32EPKfPKS1_PKPfEvbiiT2_T3_lllS8_lllT4_llli,"axG",@progbits,_ZL24rocblas_symm_hemm_kernelILb0ELb1ELi32EPKfPKS1_PKPfEvbiiT2_T3_lllS8_lllT4_llli,comdat
	.globl	_ZL24rocblas_symm_hemm_kernelILb0ELb1ELi32EPKfPKS1_PKPfEvbiiT2_T3_lllS8_lllT4_llli ; -- Begin function _ZL24rocblas_symm_hemm_kernelILb0ELb1ELi32EPKfPKS1_PKPfEvbiiT2_T3_lllS8_lllT4_llli
	.p2align	8
	.type	_ZL24rocblas_symm_hemm_kernelILb0ELb1ELi32EPKfPKS1_PKPfEvbiiT2_T3_lllS8_lllT4_llli,@function
_ZL24rocblas_symm_hemm_kernelILb0ELb1ELi32EPKfPKS1_PKPfEvbiiT2_T3_lllS8_lllT4_llli: ; @_ZL24rocblas_symm_hemm_kernelILb0ELb1ELi32EPKfPKS1_PKPfEvbiiT2_T3_lllS8_lllT4_llli
; %bb.0:
	s_load_b256 s[4:11], s[0:1], 0x10
	s_wait_kmcnt 0x0
	s_load_b32 s3, s[4:5], 0x0
	s_wait_kmcnt 0x0
	s_cmp_eq_f32 s3, 0
	s_cbranch_scc1 .LBB34_16
; %bb.1:
	s_load_b32 s23, s[0:1], 0x78
	s_lshr_b32 s4, ttmp7, 16
	s_wait_kmcnt 0x0
	s_cmp_ge_u32 s4, s23
	s_cbranch_scc1 .LBB34_16
; %bb.2:
	s_clause 0x4
	s_load_b96 s[20:22], s[0:1], 0x0
	s_load_b128 s[12:15], s[0:1], 0x38
	s_load_b64 s[24:25], s[0:1], 0x68
	s_load_b64 s[26:27], s[0:1], 0x48
	s_load_b128 s[16:19], s[0:1], 0x58
	v_and_b32_e32 v6, 0x3ff, v0
	v_bfe_u32 v7, v0, 10, 10
	s_add_nc_u64 s[28:29], s[0:1], 0x80
	s_mov_b32 s5, 0
	s_delay_alu instid0(VALU_DEP_2) | instskip(NEXT) | instid1(VALU_DEP_2)
	v_lshl_add_u32 v2, ttmp9, 5, v6
	v_lshlrev_b32_e32 v0, 2, v7
	v_lshlrev_b32_e32 v8, 7, v6
	s_delay_alu instid0(VALU_DEP_3) | instskip(NEXT) | instid1(VALU_DEP_3)
	v_ashrrev_i32_e32 v3, 31, v2
	v_or_b32_e32 v9, 0x1000, v0
	s_delay_alu instid0(VALU_DEP_3) | instskip(NEXT) | instid1(VALU_DEP_3)
	v_add_nc_u32_e32 v10, v8, v0
	v_lshlrev_b64_e32 v[0:1], 2, v[2:3]
	s_delay_alu instid0(VALU_DEP_3)
	v_add_nc_u32_e32 v11, v9, v8
	s_wait_kmcnt 0x0
	s_bitcmp1_b32 s20, 0
	v_add_nc_u32_e32 v12, 0x400, v9
	s_cselect_b32 s0, -1, 0
	s_add_co_i32 s1, s22, -1
	s_wait_alu 0xfffe
	s_and_b32 s30, ttmp7, 0xffff
	s_ashr_i32 s2, s1, 31
	v_add_nc_u32_e32 v13, 0x800, v9
	s_lshr_b32 s2, s2, 27
	v_add_nc_u32_e32 v14, 0xc00, v9
	s_add_co_i32 s1, s1, s2
	s_wait_alu 0xfffe
	s_ashr_i32 s31, s1, 5
	v_cmp_gt_i32_e64 s1, s21, v2
	s_cmp_le_i32 s30, s31
	s_cselect_b32 s33, -1, 0
	s_cmp_gt_i32 s22, 0
	s_cselect_b32 s34, -1, 0
	s_lshl_b64 s[8:9], s[8:9], 2
	s_lshl_b64 s[18:19], s[18:19], 2
	;; [unrolled: 1-line block ×3, first 2 shown]
	s_branch .LBB34_4
.LBB34_3:                               ;   in Loop: Header=BB34_4 Depth=1
	s_add_co_i32 s4, s4, 0x10000
	s_delay_alu instid0(SALU_CYCLE_1)
	s_cmp_lt_u32 s4, s23
	s_cbranch_scc0 .LBB34_16
.LBB34_4:                               ; =>This Loop Header: Depth=1
                                        ;     Child Loop BB34_7 Depth 2
                                        ;       Child Loop BB34_10 Depth 3
	s_and_not1_b32 vcc_lo, exec_lo, s33
	s_wait_alu 0xfffe
	s_cbranch_vccnz .LBB34_3
; %bb.5:                                ;   in Loop: Header=BB34_4 Depth=1
	s_lshl_b64 s[20:21], s[4:5], 3
	s_wait_alu 0xfffe
	s_add_nc_u64 s[36:37], s[16:17], s[20:21]
	s_add_nc_u64 s[38:39], s[12:13], s[20:21]
	s_load_b64 s[36:37], s[36:37], 0x0
	s_load_b64 s[38:39], s[38:39], 0x0
	s_add_nc_u64 s[20:21], s[6:7], s[20:21]
	s_load_b64 s[20:21], s[20:21], 0x0
	s_load_b32 s35, s[28:29], 0x4
	s_wait_kmcnt 0x0
	s_add_nc_u64 s[36:37], s[36:37], s[18:19]
	s_add_nc_u64 s[38:39], s[38:39], s[14:15]
	;; [unrolled: 1-line block ×3, first 2 shown]
	s_wait_alu 0xfffe
	v_add_co_u32 v15, vcc_lo, s38, v0
	s_wait_alu 0xfffd
	v_add_co_ci_u32_e64 v16, null, s39, v1, vcc_lo
	v_add_co_u32 v17, vcc_lo, s36, v0
	s_wait_alu 0xfffd
	v_add_co_ci_u32_e64 v18, null, s37, v1, vcc_lo
	s_mov_b32 s36, s30
	s_branch .LBB34_7
.LBB34_6:                               ;   in Loop: Header=BB34_7 Depth=2
	s_add_co_i32 s36, s36, s35
	s_wait_alu 0xfffe
	s_cmp_gt_i32 s36, s31
	s_cbranch_scc1 .LBB34_3
.LBB34_7:                               ;   Parent Loop BB34_4 Depth=1
                                        ; =>  This Loop Header: Depth=2
                                        ;       Child Loop BB34_10 Depth 3
	s_and_not1_b32 vcc_lo, exec_lo, s34
	s_wait_alu 0xfffe
	s_cbranch_vccnz .LBB34_6
; %bb.8:                                ;   in Loop: Header=BB34_7 Depth=2
	v_lshl_add_u32 v19, s36, 5, v7
	s_mov_b32 s37, 0
	s_delay_alu instid0(VALU_DEP_1) | instskip(SKIP_3) | instid1(VALU_DEP_4)
	v_ashrrev_i32_e32 v4, 31, v19
	v_mul_lo_u32 v5, s25, v19
	v_mad_co_u64_u32 v[2:3], null, s24, v19, 0
	v_cmp_gt_i32_e32 vcc_lo, s22, v19
	v_mul_lo_u32 v4, s24, v4
	s_delay_alu instid0(VALU_DEP_1) | instskip(NEXT) | instid1(VALU_DEP_1)
	v_add3_u32 v3, v3, v4, v5
	v_lshlrev_b64_e32 v[2:3], 2, v[2:3]
	s_delay_alu instid0(VALU_DEP_1) | instskip(SKIP_1) | instid1(VALU_DEP_2)
	v_add_co_u32 v2, s2, v17, v2
	s_wait_alu 0xf1ff
	v_add_co_ci_u32_e64 v3, null, v18, v3, s2
	s_and_b32 s2, s1, vcc_lo
	s_branch .LBB34_10
.LBB34_9:                               ;   in Loop: Header=BB34_10 Depth=3
	s_wait_alu 0xfffe
	s_or_b32 exec_lo, exec_lo, s38
	s_add_co_i32 s37, s37, 32
	s_wait_storecnt 0x0
	s_wait_loadcnt_dscnt 0x0
	s_wait_alu 0xfffe
	s_cmp_ge_i32 s37, s22
	s_barrier_signal -1
	s_barrier_wait -1
	global_inv scope:SCOPE_SE
	s_cbranch_scc1 .LBB34_6
.LBB34_10:                              ;   Parent Loop BB34_4 Depth=1
                                        ;     Parent Loop BB34_7 Depth=2
                                        ; =>    This Inner Loop Header: Depth=3
	s_wait_alu 0xfffe
	v_dual_mov_b32 v5, 0 :: v_dual_add_nc_u32 v4, s37, v7
	v_mov_b32_e32 v20, 0
	s_delay_alu instid0(VALU_DEP_2)
	v_cmp_gt_i32_e32 vcc_lo, s22, v4
	s_and_b32 s39, s1, vcc_lo
	s_wait_alu 0xfffe
	s_and_saveexec_b32 s38, s39
	s_cbranch_execz .LBB34_12
; %bb.11:                               ;   in Loop: Header=BB34_10 Depth=3
	v_ashrrev_i32_e32 v22, 31, v4
	v_mul_lo_u32 v23, s27, v4
	v_mad_co_u64_u32 v[20:21], null, s26, v4, 0
	s_delay_alu instid0(VALU_DEP_3) | instskip(NEXT) | instid1(VALU_DEP_1)
	v_mul_lo_u32 v4, s26, v22
	v_add3_u32 v21, v21, v4, v23
	s_delay_alu instid0(VALU_DEP_1) | instskip(NEXT) | instid1(VALU_DEP_1)
	v_lshlrev_b64_e32 v[20:21], 2, v[20:21]
	v_add_co_u32 v20, vcc_lo, v15, v20
	s_wait_alu 0xfffd
	s_delay_alu instid0(VALU_DEP_2)
	v_add_co_ci_u32_e64 v21, null, v16, v21, vcc_lo
	flat_load_b32 v20, v[20:21]
.LBB34_12:                              ;   in Loop: Header=BB34_10 Depth=3
	s_wait_alu 0xfffe
	s_or_b32 exec_lo, exec_lo, s38
	v_add_nc_u32_e32 v21, s37, v6
	s_mov_b32 s38, exec_lo
	s_wait_loadcnt_dscnt 0x0
	ds_store_b32 v10, v20
	v_cndmask_b32_e64 v4, v19, v21, s0
	v_cndmask_b32_e64 v22, v21, v19, s0
	s_delay_alu instid0(VALU_DEP_1) | instskip(SKIP_2) | instid1(VALU_DEP_1)
	v_cmp_gt_i32_e32 vcc_lo, v4, v22
	s_wait_alu 0xfffd
	v_dual_cndmask_b32 v4, v21, v19 :: v_dual_cndmask_b32 v21, v19, v21
	v_max_i32_e32 v22, v4, v21
	s_delay_alu instid0(VALU_DEP_1)
	v_cmpx_gt_i32_e64 s22, v22
	s_cbranch_execz .LBB34_14
; %bb.13:                               ;   in Loop: Header=BB34_10 Depth=3
	v_ashrrev_i32_e32 v5, 31, v21
	v_mul_lo_u32 v22, s11, v21
	v_mad_co_u64_u32 v[20:21], null, s10, v21, 0
	s_delay_alu instid0(VALU_DEP_3) | instskip(NEXT) | instid1(VALU_DEP_1)
	v_mul_lo_u32 v5, s10, v5
	v_add3_u32 v21, v21, v5, v22
	v_ashrrev_i32_e32 v5, 31, v4
	s_delay_alu instid0(VALU_DEP_2) | instskip(NEXT) | instid1(VALU_DEP_2)
	v_lshlrev_b64_e32 v[20:21], 2, v[20:21]
	v_lshlrev_b64_e32 v[4:5], 2, v[4:5]
	s_delay_alu instid0(VALU_DEP_2) | instskip(SKIP_1) | instid1(VALU_DEP_3)
	v_add_co_u32 v20, vcc_lo, s20, v20
	s_wait_alu 0xfffd
	v_add_co_ci_u32_e64 v21, null, s21, v21, vcc_lo
	s_delay_alu instid0(VALU_DEP_2) | instskip(SKIP_1) | instid1(VALU_DEP_2)
	v_add_co_u32 v4, vcc_lo, v20, v4
	s_wait_alu 0xfffd
	v_add_co_ci_u32_e64 v5, null, v21, v5, vcc_lo
	flat_load_b32 v5, v[4:5]
.LBB34_14:                              ;   in Loop: Header=BB34_10 Depth=3
	s_wait_alu 0xfffe
	s_or_b32 exec_lo, exec_lo, s38
	s_wait_loadcnt_dscnt 0x0
	ds_store_b32 v11, v5
	s_wait_dscnt 0x0
	s_barrier_signal -1
	s_barrier_wait -1
	global_inv scope:SCOPE_SE
	s_and_saveexec_b32 s38, s2
	s_cbranch_execz .LBB34_9
; %bb.15:                               ;   in Loop: Header=BB34_10 Depth=3
	flat_load_b32 v32, v[2:3]
	ds_load_b128 v[20:23], v8
	ds_load_2addr_b32 v[4:5], v9 offset1:32
	ds_load_2addr_b32 v[28:29], v9 offset0:64 offset1:96
	ds_load_b128 v[24:27], v8 offset:16
	ds_load_2addr_b32 v[30:31], v9 offset0:128 offset1:160
	s_wait_dscnt 0x3
	v_fma_f32 v33, v20, v4, 0
	s_delay_alu instid0(VALU_DEP_1) | instskip(SKIP_3) | instid1(VALU_DEP_1)
	v_fmac_f32_e32 v33, v21, v5
	ds_load_2addr_b32 v[4:5], v9 offset0:192 offset1:224
	s_wait_dscnt 0x3
	v_fmac_f32_e32 v33, v22, v28
	v_fmac_f32_e32 v33, v23, v29
	ds_load_b128 v[20:23], v8 offset:32
	ds_load_2addr_b32 v[28:29], v12 offset1:32
	s_wait_dscnt 0x3
	v_fmac_f32_e32 v33, v24, v30
	s_delay_alu instid0(VALU_DEP_1) | instskip(SKIP_3) | instid1(VALU_DEP_1)
	v_fmac_f32_e32 v33, v25, v31
	ds_load_2addr_b32 v[30:31], v12 offset0:64 offset1:96
	s_wait_dscnt 0x3
	v_fmac_f32_e32 v33, v26, v4
	v_fmac_f32_e32 v33, v27, v5
	ds_load_b128 v[24:27], v8 offset:48
	ds_load_2addr_b32 v[4:5], v12 offset0:128 offset1:160
	s_wait_dscnt 0x3
	v_fmac_f32_e32 v33, v20, v28
	s_delay_alu instid0(VALU_DEP_1) | instskip(SKIP_3) | instid1(VALU_DEP_1)
	v_fmac_f32_e32 v33, v21, v29
	ds_load_2addr_b32 v[28:29], v12 offset0:192 offset1:224
	s_wait_dscnt 0x3
	v_fmac_f32_e32 v33, v22, v30
	v_fmac_f32_e32 v33, v23, v31
	ds_load_b128 v[20:23], v8 offset:64
	ds_load_2addr_b32 v[30:31], v13 offset1:32
	s_wait_dscnt 0x3
	v_fmac_f32_e32 v33, v24, v4
	s_delay_alu instid0(VALU_DEP_1) | instskip(SKIP_3) | instid1(VALU_DEP_1)
	v_fmac_f32_e32 v33, v25, v5
	ds_load_2addr_b32 v[4:5], v13 offset0:64 offset1:96
	s_wait_dscnt 0x3
	v_fmac_f32_e32 v33, v26, v28
	v_fmac_f32_e32 v33, v27, v29
	ds_load_b128 v[24:27], v8 offset:80
	ds_load_2addr_b32 v[28:29], v13 offset0:128 offset1:160
	s_wait_dscnt 0x3
	v_fmac_f32_e32 v33, v20, v30
	;; [unrolled: 20-line block ×3, first 2 shown]
	s_delay_alu instid0(VALU_DEP_1) | instskip(SKIP_3) | instid1(VALU_DEP_1)
	v_fmac_f32_e32 v33, v21, v5
	ds_load_2addr_b32 v[4:5], v14 offset0:192 offset1:224
	s_wait_dscnt 0x3
	v_fmac_f32_e32 v33, v22, v28
	v_fmac_f32_e32 v33, v23, v29
	s_wait_dscnt 0x1
	s_delay_alu instid0(VALU_DEP_1) | instskip(NEXT) | instid1(VALU_DEP_1)
	v_fmac_f32_e32 v33, v24, v30
	v_fmac_f32_e32 v33, v25, v31
	s_wait_dscnt 0x0
	s_delay_alu instid0(VALU_DEP_1) | instskip(NEXT) | instid1(VALU_DEP_1)
	v_fmac_f32_e32 v33, v26, v4
	v_fmac_f32_e32 v33, v27, v5
	s_wait_loadcnt 0x0
	s_delay_alu instid0(VALU_DEP_1)
	v_fmac_f32_e32 v32, s3, v33
	flat_store_b32 v[2:3], v32
	s_branch .LBB34_9
.LBB34_16:
	s_endpgm
	.section	.rodata,"a",@progbits
	.p2align	6, 0x0
	.amdhsa_kernel _ZL24rocblas_symm_hemm_kernelILb0ELb1ELi32EPKfPKS1_PKPfEvbiiT2_T3_lllS8_lllT4_llli
		.amdhsa_group_segment_fixed_size 8192
		.amdhsa_private_segment_fixed_size 0
		.amdhsa_kernarg_size 384
		.amdhsa_user_sgpr_count 2
		.amdhsa_user_sgpr_dispatch_ptr 0
		.amdhsa_user_sgpr_queue_ptr 0
		.amdhsa_user_sgpr_kernarg_segment_ptr 1
		.amdhsa_user_sgpr_dispatch_id 0
		.amdhsa_user_sgpr_private_segment_size 0
		.amdhsa_wavefront_size32 1
		.amdhsa_uses_dynamic_stack 0
		.amdhsa_enable_private_segment 0
		.amdhsa_system_sgpr_workgroup_id_x 1
		.amdhsa_system_sgpr_workgroup_id_y 1
		.amdhsa_system_sgpr_workgroup_id_z 1
		.amdhsa_system_sgpr_workgroup_info 0
		.amdhsa_system_vgpr_workitem_id 1
		.amdhsa_next_free_vgpr 34
		.amdhsa_next_free_sgpr 40
		.amdhsa_reserve_vcc 1
		.amdhsa_float_round_mode_32 0
		.amdhsa_float_round_mode_16_64 0
		.amdhsa_float_denorm_mode_32 3
		.amdhsa_float_denorm_mode_16_64 3
		.amdhsa_fp16_overflow 0
		.amdhsa_workgroup_processor_mode 1
		.amdhsa_memory_ordered 1
		.amdhsa_forward_progress 1
		.amdhsa_inst_pref_size 12
		.amdhsa_round_robin_scheduling 0
		.amdhsa_exception_fp_ieee_invalid_op 0
		.amdhsa_exception_fp_denorm_src 0
		.amdhsa_exception_fp_ieee_div_zero 0
		.amdhsa_exception_fp_ieee_overflow 0
		.amdhsa_exception_fp_ieee_underflow 0
		.amdhsa_exception_fp_ieee_inexact 0
		.amdhsa_exception_int_div_zero 0
	.end_amdhsa_kernel
	.section	.text._ZL24rocblas_symm_hemm_kernelILb0ELb1ELi32EPKfPKS1_PKPfEvbiiT2_T3_lllS8_lllT4_llli,"axG",@progbits,_ZL24rocblas_symm_hemm_kernelILb0ELb1ELi32EPKfPKS1_PKPfEvbiiT2_T3_lllS8_lllT4_llli,comdat
.Lfunc_end34:
	.size	_ZL24rocblas_symm_hemm_kernelILb0ELb1ELi32EPKfPKS1_PKPfEvbiiT2_T3_lllS8_lllT4_llli, .Lfunc_end34-_ZL24rocblas_symm_hemm_kernelILb0ELb1ELi32EPKfPKS1_PKPfEvbiiT2_T3_lllS8_lllT4_llli
                                        ; -- End function
	.set _ZL24rocblas_symm_hemm_kernelILb0ELb1ELi32EPKfPKS1_PKPfEvbiiT2_T3_lllS8_lllT4_llli.num_vgpr, 34
	.set _ZL24rocblas_symm_hemm_kernelILb0ELb1ELi32EPKfPKS1_PKPfEvbiiT2_T3_lllS8_lllT4_llli.num_agpr, 0
	.set _ZL24rocblas_symm_hemm_kernelILb0ELb1ELi32EPKfPKS1_PKPfEvbiiT2_T3_lllS8_lllT4_llli.numbered_sgpr, 40
	.set _ZL24rocblas_symm_hemm_kernelILb0ELb1ELi32EPKfPKS1_PKPfEvbiiT2_T3_lllS8_lllT4_llli.num_named_barrier, 0
	.set _ZL24rocblas_symm_hemm_kernelILb0ELb1ELi32EPKfPKS1_PKPfEvbiiT2_T3_lllS8_lllT4_llli.private_seg_size, 0
	.set _ZL24rocblas_symm_hemm_kernelILb0ELb1ELi32EPKfPKS1_PKPfEvbiiT2_T3_lllS8_lllT4_llli.uses_vcc, 1
	.set _ZL24rocblas_symm_hemm_kernelILb0ELb1ELi32EPKfPKS1_PKPfEvbiiT2_T3_lllS8_lllT4_llli.uses_flat_scratch, 0
	.set _ZL24rocblas_symm_hemm_kernelILb0ELb1ELi32EPKfPKS1_PKPfEvbiiT2_T3_lllS8_lllT4_llli.has_dyn_sized_stack, 0
	.set _ZL24rocblas_symm_hemm_kernelILb0ELb1ELi32EPKfPKS1_PKPfEvbiiT2_T3_lllS8_lllT4_llli.has_recursion, 0
	.set _ZL24rocblas_symm_hemm_kernelILb0ELb1ELi32EPKfPKS1_PKPfEvbiiT2_T3_lllS8_lllT4_llli.has_indirect_call, 0
	.section	.AMDGPU.csdata,"",@progbits
; Kernel info:
; codeLenInByte = 1468
; TotalNumSgprs: 42
; NumVgprs: 34
; ScratchSize: 0
; MemoryBound: 0
; FloatMode: 240
; IeeeMode: 1
; LDSByteSize: 8192 bytes/workgroup (compile time only)
; SGPRBlocks: 0
; VGPRBlocks: 4
; NumSGPRsForWavesPerEU: 42
; NumVGPRsForWavesPerEU: 34
; Occupancy: 16
; WaveLimiterHint : 1
; COMPUTE_PGM_RSRC2:SCRATCH_EN: 0
; COMPUTE_PGM_RSRC2:USER_SGPR: 2
; COMPUTE_PGM_RSRC2:TRAP_HANDLER: 0
; COMPUTE_PGM_RSRC2:TGID_X_EN: 1
; COMPUTE_PGM_RSRC2:TGID_Y_EN: 1
; COMPUTE_PGM_RSRC2:TGID_Z_EN: 1
; COMPUTE_PGM_RSRC2:TIDIG_COMP_CNT: 1
	.section	.text._ZL25rocblas_symm_scale_kernelILi128ELi8EfPKPfEviiT1_T2_llli,"axG",@progbits,_ZL25rocblas_symm_scale_kernelILi128ELi8EfPKPfEviiT1_T2_llli,comdat
	.globl	_ZL25rocblas_symm_scale_kernelILi128ELi8EfPKPfEviiT1_T2_llli ; -- Begin function _ZL25rocblas_symm_scale_kernelILi128ELi8EfPKPfEviiT1_T2_llli
	.p2align	8
	.type	_ZL25rocblas_symm_scale_kernelILi128ELi8EfPKPfEviiT1_T2_llli,@function
_ZL25rocblas_symm_scale_kernelILi128ELi8EfPKPfEviiT1_T2_llli: ; @_ZL25rocblas_symm_scale_kernelILi128ELi8EfPKPfEviiT1_T2_llli
; %bb.0:
	s_load_b96 s[8:10], s[0:1], 0x0
	s_wait_kmcnt 0x0
	s_cmp_eq_f32 s10, 1.0
	s_cbranch_scc1 .LBB35_10
; %bb.1:
	s_load_b32 s11, s[0:1], 0x30
	s_lshr_b32 s12, ttmp7, 16
	s_wait_kmcnt 0x0
	s_cmp_ge_u32 s12, s11
	s_cbranch_scc1 .LBB35_10
; %bb.2:
	s_clause 0x1
	s_load_b64 s[16:17], s[0:1], 0x20
	s_load_b128 s[4:7], s[0:1], 0x10
	v_bfe_u32 v1, v0, 10, 10
	s_and_b32 s2, ttmp7, 0xffff
	v_and_b32_e32 v0, 0x3ff, v0
	v_mov_b32_e32 v2, 0
	s_ashr_i32 s15, s9, 31
	v_lshl_add_u32 v1, s2, 3, v1
	s_mov_b32 s14, s9
	s_delay_alu instid0(VALU_DEP_2) | instskip(NEXT) | instid1(VALU_DEP_2)
	v_mov_b32_e32 v6, v2
	v_cmp_gt_i64_e32 vcc_lo, s[14:15], v[1:2]
	s_wait_kmcnt 0x0
	v_mad_co_u64_u32 v[3:4], null, s16, v1, 0
	s_delay_alu instid0(VALU_DEP_1) | instskip(SKIP_1) | instid1(VALU_DEP_1)
	v_mad_co_u64_u32 v[4:5], null, s17, v1, v[4:5]
	v_lshl_add_u32 v5, ttmp9, 7, v0
	v_cmp_gt_u32_e64 s2, s8, v5
	s_delay_alu instid0(VALU_DEP_3)
	v_lshlrev_b64_e32 v[3:4], 2, v[3:4]
	v_lshlrev_b64_e32 v[5:6], 2, v[5:6]
	s_and_b32 s18, s2, vcc_lo
	s_cmp_neq_f32 s10, 0
	s_cselect_b32 s19, -1, 0
	s_lshl_b64 s[2:3], s[6:7], 2
	s_add_nc_u64 s[6:7], s[0:1], 56
	s_wait_alu 0xfffe
	v_add_co_u32 v0, vcc_lo, v3, s2
	s_delay_alu instid0(VALU_DEP_1)
	v_add_co_ci_u32_e64 v3, null, s3, v4, vcc_lo
	s_mov_b32 s3, 0
	v_add_co_u32 v0, vcc_lo, v0, v5
	s_wait_alu 0xfffd
	v_add_co_ci_u32_e64 v7, null, v3, v6, vcc_lo
	s_lshl_b64 s[8:9], s[16:17], 2
	s_branch .LBB35_4
.LBB35_3:                               ;   in Loop: Header=BB35_4 Depth=1
	s_wait_alu 0xfffe
	s_or_b32 exec_lo, exec_lo, s1
	s_add_co_i32 s12, s12, 0x10000
	s_delay_alu instid0(SALU_CYCLE_1)
	s_cmp_lt_u32 s12, s11
	s_cbranch_scc0 .LBB35_10
.LBB35_4:                               ; =>This Loop Header: Depth=1
                                        ;     Child Loop BB35_8 Depth 2
	s_and_saveexec_b32 s1, s18
	s_cbranch_execz .LBB35_3
; %bb.5:                                ;   in Loop: Header=BB35_4 Depth=1
	s_wait_alu 0xfffe
	s_mov_b32 s13, s3
	s_load_b32 s0, s[6:7], 0x4
	s_lshl_b64 s[16:17], s[12:13], 3
	v_dual_mov_b32 v6, v2 :: v_dual_mov_b32 v5, v1
	s_wait_alu 0xfffe
	s_add_nc_u64 s[16:17], s[4:5], s[16:17]
	s_mov_b32 s13, 0
	s_load_b64 s[16:17], s[16:17], 0x0
	s_wait_kmcnt 0x0
	s_lshl_b32 s2, s0, 3
	v_add_co_u32 v3, vcc_lo, s16, v0
	s_wait_alu 0xfffd
	v_add_co_ci_u32_e64 v4, null, s17, v7, vcc_lo
	s_wait_alu 0xfffe
	s_mul_u64 s[16:17], s[8:9], s[2:3]
	s_branch .LBB35_8
.LBB35_6:                               ;   in Loop: Header=BB35_8 Depth=2
	flat_load_b32 v8, v[3:4]
	s_wait_loadcnt_dscnt 0x0
	v_mul_f32_e32 v8, s10, v8
.LBB35_7:                               ;   in Loop: Header=BB35_8 Depth=2
	v_add_co_u32 v5, vcc_lo, v5, s2
	s_wait_alu 0xfffd
	v_add_co_ci_u32_e64 v6, null, 0, v6, vcc_lo
	flat_store_b32 v[3:4], v8
	v_add_co_u32 v3, s0, v3, s16
	v_cmp_le_i64_e32 vcc_lo, s[14:15], v[5:6]
	s_wait_alu 0xf1ff
	v_add_co_ci_u32_e64 v4, null, s17, v4, s0
	s_or_b32 s13, vcc_lo, s13
	s_delay_alu instid0(SALU_CYCLE_1)
	s_and_not1_b32 exec_lo, exec_lo, s13
	s_cbranch_execz .LBB35_3
.LBB35_8:                               ;   Parent Loop BB35_4 Depth=1
                                        ; =>  This Inner Loop Header: Depth=2
	s_and_not1_b32 vcc_lo, exec_lo, s19
	s_wait_alu 0xfffe
	s_cbranch_vccz .LBB35_6
; %bb.9:                                ;   in Loop: Header=BB35_8 Depth=2
	v_mov_b32_e32 v8, 0
	s_branch .LBB35_7
.LBB35_10:
	s_endpgm
	.section	.rodata,"a",@progbits
	.p2align	6, 0x0
	.amdhsa_kernel _ZL25rocblas_symm_scale_kernelILi128ELi8EfPKPfEviiT1_T2_llli
		.amdhsa_group_segment_fixed_size 0
		.amdhsa_private_segment_fixed_size 0
		.amdhsa_kernarg_size 312
		.amdhsa_user_sgpr_count 2
		.amdhsa_user_sgpr_dispatch_ptr 0
		.amdhsa_user_sgpr_queue_ptr 0
		.amdhsa_user_sgpr_kernarg_segment_ptr 1
		.amdhsa_user_sgpr_dispatch_id 0
		.amdhsa_user_sgpr_private_segment_size 0
		.amdhsa_wavefront_size32 1
		.amdhsa_uses_dynamic_stack 0
		.amdhsa_enable_private_segment 0
		.amdhsa_system_sgpr_workgroup_id_x 1
		.amdhsa_system_sgpr_workgroup_id_y 1
		.amdhsa_system_sgpr_workgroup_id_z 1
		.amdhsa_system_sgpr_workgroup_info 0
		.amdhsa_system_vgpr_workitem_id 1
		.amdhsa_next_free_vgpr 9
		.amdhsa_next_free_sgpr 20
		.amdhsa_reserve_vcc 1
		.amdhsa_float_round_mode_32 0
		.amdhsa_float_round_mode_16_64 0
		.amdhsa_float_denorm_mode_32 3
		.amdhsa_float_denorm_mode_16_64 3
		.amdhsa_fp16_overflow 0
		.amdhsa_workgroup_processor_mode 1
		.amdhsa_memory_ordered 1
		.amdhsa_forward_progress 1
		.amdhsa_inst_pref_size 4
		.amdhsa_round_robin_scheduling 0
		.amdhsa_exception_fp_ieee_invalid_op 0
		.amdhsa_exception_fp_denorm_src 0
		.amdhsa_exception_fp_ieee_div_zero 0
		.amdhsa_exception_fp_ieee_overflow 0
		.amdhsa_exception_fp_ieee_underflow 0
		.amdhsa_exception_fp_ieee_inexact 0
		.amdhsa_exception_int_div_zero 0
	.end_amdhsa_kernel
	.section	.text._ZL25rocblas_symm_scale_kernelILi128ELi8EfPKPfEviiT1_T2_llli,"axG",@progbits,_ZL25rocblas_symm_scale_kernelILi128ELi8EfPKPfEviiT1_T2_llli,comdat
.Lfunc_end35:
	.size	_ZL25rocblas_symm_scale_kernelILi128ELi8EfPKPfEviiT1_T2_llli, .Lfunc_end35-_ZL25rocblas_symm_scale_kernelILi128ELi8EfPKPfEviiT1_T2_llli
                                        ; -- End function
	.set _ZL25rocblas_symm_scale_kernelILi128ELi8EfPKPfEviiT1_T2_llli.num_vgpr, 9
	.set _ZL25rocblas_symm_scale_kernelILi128ELi8EfPKPfEviiT1_T2_llli.num_agpr, 0
	.set _ZL25rocblas_symm_scale_kernelILi128ELi8EfPKPfEviiT1_T2_llli.numbered_sgpr, 20
	.set _ZL25rocblas_symm_scale_kernelILi128ELi8EfPKPfEviiT1_T2_llli.num_named_barrier, 0
	.set _ZL25rocblas_symm_scale_kernelILi128ELi8EfPKPfEviiT1_T2_llli.private_seg_size, 0
	.set _ZL25rocblas_symm_scale_kernelILi128ELi8EfPKPfEviiT1_T2_llli.uses_vcc, 1
	.set _ZL25rocblas_symm_scale_kernelILi128ELi8EfPKPfEviiT1_T2_llli.uses_flat_scratch, 0
	.set _ZL25rocblas_symm_scale_kernelILi128ELi8EfPKPfEviiT1_T2_llli.has_dyn_sized_stack, 0
	.set _ZL25rocblas_symm_scale_kernelILi128ELi8EfPKPfEviiT1_T2_llli.has_recursion, 0
	.set _ZL25rocblas_symm_scale_kernelILi128ELi8EfPKPfEviiT1_T2_llli.has_indirect_call, 0
	.section	.AMDGPU.csdata,"",@progbits
; Kernel info:
; codeLenInByte = 488
; TotalNumSgprs: 22
; NumVgprs: 9
; ScratchSize: 0
; MemoryBound: 0
; FloatMode: 240
; IeeeMode: 1
; LDSByteSize: 0 bytes/workgroup (compile time only)
; SGPRBlocks: 0
; VGPRBlocks: 1
; NumSGPRsForWavesPerEU: 22
; NumVGPRsForWavesPerEU: 9
; Occupancy: 16
; WaveLimiterHint : 0
; COMPUTE_PGM_RSRC2:SCRATCH_EN: 0
; COMPUTE_PGM_RSRC2:USER_SGPR: 2
; COMPUTE_PGM_RSRC2:TRAP_HANDLER: 0
; COMPUTE_PGM_RSRC2:TGID_X_EN: 1
; COMPUTE_PGM_RSRC2:TGID_Y_EN: 1
; COMPUTE_PGM_RSRC2:TGID_Z_EN: 1
; COMPUTE_PGM_RSRC2:TIDIG_COMP_CNT: 1
	.section	.text._ZL24rocblas_symm_hemm_kernelILb0ELb0ELi32EfPKPKfPKPfEvbiiT2_T3_lllS8_lllT4_llli,"axG",@progbits,_ZL24rocblas_symm_hemm_kernelILb0ELb0ELi32EfPKPKfPKPfEvbiiT2_T3_lllS8_lllT4_llli,comdat
	.globl	_ZL24rocblas_symm_hemm_kernelILb0ELb0ELi32EfPKPKfPKPfEvbiiT2_T3_lllS8_lllT4_llli ; -- Begin function _ZL24rocblas_symm_hemm_kernelILb0ELb0ELi32EfPKPKfPKPfEvbiiT2_T3_lllS8_lllT4_llli
	.p2align	8
	.type	_ZL24rocblas_symm_hemm_kernelILb0ELb0ELi32EfPKPKfPKPfEvbiiT2_T3_lllS8_lllT4_llli,@function
_ZL24rocblas_symm_hemm_kernelILb0ELb0ELi32EfPKPKfPKPfEvbiiT2_T3_lllS8_lllT4_llli: ; @_ZL24rocblas_symm_hemm_kernelILb0ELb0ELi32EfPKPKfPKPfEvbiiT2_T3_lllS8_lllT4_llli
; %bb.0:
	s_load_b128 s[4:7], s[0:1], 0x0
	s_wait_kmcnt 0x0
	s_cmp_eq_f32 s7, 0
	s_cbranch_scc1 .LBB36_16
; %bb.1:
	s_load_b32 s33, s[0:1], 0x70
	s_lshr_b32 s20, ttmp7, 16
	s_wait_kmcnt 0x0
	s_cmp_ge_u32 s20, s33
	s_cbranch_scc1 .LBB36_16
; %bb.2:
	s_clause 0x5
	s_load_b128 s[8:11], s[0:1], 0x10
	s_load_b64 s[22:23], s[0:1], 0x20
	s_load_b128 s[12:15], s[0:1], 0x30
	s_load_b64 s[24:25], s[0:1], 0x40
	s_load_b64 s[26:27], s[0:1], 0x60
	s_load_b128 s[16:19], s[0:1], 0x50
	v_bfe_u32 v7, v0, 10, 10
	v_and_b32_e32 v8, 0x3ff, v0
	s_bitcmp1_b32 s4, 0
	s_mov_b32 s21, 0
	s_cselect_b32 s2, -1, 0
	s_add_co_i32 s3, s6, -1
	v_lshlrev_b32_e32 v1, 2, v7
	v_lshlrev_b32_e32 v9, 7, v8
	v_lshl_add_u32 v0, ttmp9, 5, v8
	s_ashr_i32 s4, s3, 31
	s_add_nc_u64 s[28:29], s[0:1], 0x78
	s_lshr_b32 s4, s4, 27
	v_or_b32_e32 v10, 0x1000, v1
	v_add_nc_u32_e32 v11, v9, v1
	v_ashrrev_i32_e32 v1, 31, v0
	s_add_co_i32 s3, s3, s4
	s_and_b32 s4, ttmp7, 0xffff
	s_ashr_i32 s36, s3, 5
	v_add_nc_u32_e32 v12, v10, v9
	s_cmp_le_i32 s4, s36
	v_lshlrev_b64_e32 v[1:2], 2, v[0:1]
	v_cmp_gt_i32_e64 s3, s5, v0
	v_add_nc_u32_e32 v13, 0x400, v10
	v_add_nc_u32_e32 v14, 0x800, v10
	;; [unrolled: 1-line block ×3, first 2 shown]
	s_cselect_b32 s37, -1, 0
	s_cmp_gt_i32 s5, 0
	s_cselect_b32 s1, -1, 0
	s_wait_kmcnt 0x0
	s_lshl_b64 s[10:11], s[10:11], 2
	s_lshl_b64 s[14:15], s[14:15], 2
	;; [unrolled: 1-line block ×3, first 2 shown]
	s_branch .LBB36_4
.LBB36_3:                               ;   in Loop: Header=BB36_4 Depth=1
	s_add_co_i32 s20, s20, 0x10000
	s_delay_alu instid0(SALU_CYCLE_1)
	s_cmp_lt_u32 s20, s33
	s_cbranch_scc0 .LBB36_16
.LBB36_4:                               ; =>This Loop Header: Depth=1
                                        ;     Child Loop BB36_7 Depth 2
                                        ;       Child Loop BB36_10 Depth 3
	s_and_not1_b32 vcc_lo, exec_lo, s37
	s_wait_alu 0xfffe
	s_cbranch_vccnz .LBB36_3
; %bb.5:                                ;   in Loop: Header=BB36_4 Depth=1
	s_lshl_b64 s[30:31], s[20:21], 3
	s_wait_alu 0xfffe
	s_add_nc_u64 s[34:35], s[16:17], s[30:31]
	s_add_nc_u64 s[38:39], s[8:9], s[30:31]
	s_load_b64 s[34:35], s[34:35], 0x0
	s_add_nc_u64 s[30:31], s[12:13], s[30:31]
	s_load_b64 s[40:41], s[38:39], 0x0
	s_load_b64 s[42:43], s[30:31], 0x0
	s_load_b32 s38, s[28:29], 0x4
	s_mov_b32 s39, s4
	s_wait_kmcnt 0x0
	s_add_nc_u64 s[30:31], s[34:35], s[18:19]
	s_add_nc_u64 s[34:35], s[42:43], s[14:15]
	s_wait_alu 0xfffe
	v_add_co_u32 v16, vcc_lo, s30, v1
	s_wait_alu 0xfffd
	v_add_co_ci_u32_e64 v17, null, s31, v2, vcc_lo
	s_add_nc_u64 s[30:31], s[40:41], s[10:11]
	s_branch .LBB36_7
.LBB36_6:                               ;   in Loop: Header=BB36_7 Depth=2
	s_add_co_i32 s39, s39, s38
	s_wait_alu 0xfffe
	s_cmp_gt_i32 s39, s36
	s_cbranch_scc1 .LBB36_3
.LBB36_7:                               ;   Parent Loop BB36_4 Depth=1
                                        ; =>  This Loop Header: Depth=2
                                        ;       Child Loop BB36_10 Depth 3
	s_and_not1_b32 vcc_lo, exec_lo, s1
	s_wait_alu 0xfffe
	s_cbranch_vccnz .LBB36_6
; %bb.8:                                ;   in Loop: Header=BB36_7 Depth=2
	v_lshl_add_u32 v18, s39, 5, v7
	s_mov_b32 s41, 0
	s_delay_alu instid0(VALU_DEP_1) | instskip(SKIP_3) | instid1(VALU_DEP_4)
	v_ashrrev_i32_e32 v19, 31, v18
	v_mul_lo_u32 v20, s25, v18
	v_mad_co_u64_u32 v[3:4], null, s24, v18, 0
	v_mul_lo_u32 v22, s27, v18
	v_mul_lo_u32 v21, s24, v19
	v_mad_co_u64_u32 v[5:6], null, s26, v18, 0
	v_mul_lo_u32 v19, s26, v19
	v_cmp_gt_i32_e32 vcc_lo, s6, v18
	s_delay_alu instid0(VALU_DEP_4) | instskip(SKIP_1) | instid1(VALU_DEP_3)
	v_add3_u32 v4, v4, v21, v20
	s_and_b32 s40, s3, vcc_lo
	v_add3_u32 v6, v6, v19, v22
	s_delay_alu instid0(VALU_DEP_2) | instskip(NEXT) | instid1(VALU_DEP_2)
	v_lshlrev_b64_e32 v[3:4], 2, v[3:4]
	v_lshlrev_b64_e32 v[5:6], 2, v[5:6]
	s_delay_alu instid0(VALU_DEP_2) | instskip(SKIP_1) | instid1(VALU_DEP_3)
	v_add_co_u32 v18, s0, s34, v3
	s_wait_alu 0xf1ff
	v_add_co_ci_u32_e64 v19, null, s35, v4, s0
	s_delay_alu instid0(VALU_DEP_3)
	v_add_co_u32 v3, s0, v16, v5
	s_wait_alu 0xf1ff
	v_add_co_ci_u32_e64 v4, null, v17, v6, s0
	s_branch .LBB36_10
.LBB36_9:                               ;   in Loop: Header=BB36_10 Depth=3
	s_wait_alu 0xfffe
	s_or_b32 exec_lo, exec_lo, s0
	s_add_co_i32 s41, s41, 32
	s_wait_storecnt 0x0
	s_wait_loadcnt_dscnt 0x0
	s_wait_alu 0xfffe
	s_cmp_ge_i32 s41, s5
	s_barrier_signal -1
	s_barrier_wait -1
	global_inv scope:SCOPE_SE
	s_cbranch_scc1 .LBB36_6
.LBB36_10:                              ;   Parent Loop BB36_4 Depth=1
                                        ;     Parent Loop BB36_7 Depth=2
                                        ; =>    This Inner Loop Header: Depth=3
	s_wait_alu 0xfffe
	v_add_nc_u32_e32 v6, s41, v7
	s_delay_alu instid0(VALU_DEP_1) | instskip(SKIP_1) | instid1(VALU_DEP_1)
	v_cndmask_b32_e64 v5, v6, v0, s2
	v_cndmask_b32_e64 v20, v0, v6, s2
	v_cmp_gt_i32_e64 s0, v5, v20
	v_mov_b32_e32 v20, 0
	s_wait_alu 0xf1ff
	s_delay_alu instid0(VALU_DEP_2) | instskip(SKIP_1) | instid1(VALU_DEP_1)
	v_cndmask_b32_e64 v5, v0, v6, s0
	v_cndmask_b32_e64 v6, v6, v0, s0
	v_max_i32_e32 v21, v5, v6
	s_delay_alu instid0(VALU_DEP_1)
	v_cmp_gt_i32_e64 s0, s5, v21
	v_mov_b32_e32 v21, 0
	s_and_saveexec_b32 s42, s0
	s_cbranch_execz .LBB36_12
; %bb.11:                               ;   in Loop: Header=BB36_10 Depth=3
	v_ashrrev_i32_e32 v23, 31, v6
	v_mul_lo_u32 v24, s23, v6
	v_mad_co_u64_u32 v[21:22], null, s22, v6, 0
	s_delay_alu instid0(VALU_DEP_3) | instskip(NEXT) | instid1(VALU_DEP_1)
	v_mul_lo_u32 v6, s22, v23
	v_add3_u32 v22, v22, v6, v24
	v_ashrrev_i32_e32 v6, 31, v5
	s_delay_alu instid0(VALU_DEP_2) | instskip(NEXT) | instid1(VALU_DEP_2)
	v_lshlrev_b64_e32 v[21:22], 2, v[21:22]
	v_lshlrev_b64_e32 v[5:6], 2, v[5:6]
	s_delay_alu instid0(VALU_DEP_2) | instskip(SKIP_1) | instid1(VALU_DEP_3)
	v_add_co_u32 v21, s0, s30, v21
	s_wait_alu 0xf1ff
	v_add_co_ci_u32_e64 v22, null, s31, v22, s0
	s_delay_alu instid0(VALU_DEP_2) | instskip(SKIP_1) | instid1(VALU_DEP_2)
	v_add_co_u32 v5, s0, v21, v5
	s_wait_alu 0xf1ff
	v_add_co_ci_u32_e64 v6, null, v22, v6, s0
	flat_load_b32 v21, v[5:6]
.LBB36_12:                              ;   in Loop: Header=BB36_10 Depth=3
	s_or_b32 exec_lo, exec_lo, s42
	v_add_nc_u32_e32 v5, s41, v8
	s_wait_loadcnt_dscnt 0x0
	ds_store_b32 v11, v21
	v_cmp_gt_i32_e64 s0, s5, v5
	s_and_b32 s0, s0, vcc_lo
	s_wait_alu 0xfffe
	s_and_saveexec_b32 s42, s0
	s_cbranch_execz .LBB36_14
; %bb.13:                               ;   in Loop: Header=BB36_10 Depth=3
	v_ashrrev_i32_e32 v6, 31, v5
	s_delay_alu instid0(VALU_DEP_1) | instskip(NEXT) | instid1(VALU_DEP_1)
	v_lshlrev_b64_e32 v[5:6], 2, v[5:6]
	v_add_co_u32 v5, s0, v18, v5
	s_wait_alu 0xf1ff
	s_delay_alu instid0(VALU_DEP_2)
	v_add_co_ci_u32_e64 v6, null, v19, v6, s0
	flat_load_b32 v20, v[5:6]
.LBB36_14:                              ;   in Loop: Header=BB36_10 Depth=3
	s_or_b32 exec_lo, exec_lo, s42
	s_wait_loadcnt_dscnt 0x0
	ds_store_b32 v12, v20
	s_wait_dscnt 0x0
	s_barrier_signal -1
	s_barrier_wait -1
	global_inv scope:SCOPE_SE
	s_and_saveexec_b32 s0, s40
	s_cbranch_execz .LBB36_9
; %bb.15:                               ;   in Loop: Header=BB36_10 Depth=3
	flat_load_b32 v32, v[3:4]
	ds_load_b128 v[20:23], v9
	ds_load_2addr_b32 v[5:6], v10 offset1:32
	ds_load_2addr_b32 v[28:29], v10 offset0:64 offset1:96
	ds_load_b128 v[24:27], v9 offset:16
	ds_load_2addr_b32 v[30:31], v10 offset0:128 offset1:160
	s_wait_dscnt 0x3
	v_fma_f32 v33, v20, v5, 0
	s_delay_alu instid0(VALU_DEP_1) | instskip(SKIP_3) | instid1(VALU_DEP_1)
	v_fmac_f32_e32 v33, v21, v6
	ds_load_2addr_b32 v[5:6], v10 offset0:192 offset1:224
	s_wait_dscnt 0x3
	v_fmac_f32_e32 v33, v22, v28
	v_fmac_f32_e32 v33, v23, v29
	ds_load_b128 v[20:23], v9 offset:32
	ds_load_2addr_b32 v[28:29], v13 offset1:32
	s_wait_dscnt 0x3
	v_fmac_f32_e32 v33, v24, v30
	s_delay_alu instid0(VALU_DEP_1) | instskip(SKIP_3) | instid1(VALU_DEP_1)
	v_fmac_f32_e32 v33, v25, v31
	ds_load_2addr_b32 v[30:31], v13 offset0:64 offset1:96
	s_wait_dscnt 0x3
	v_fmac_f32_e32 v33, v26, v5
	v_fmac_f32_e32 v33, v27, v6
	ds_load_b128 v[24:27], v9 offset:48
	ds_load_2addr_b32 v[5:6], v13 offset0:128 offset1:160
	s_wait_dscnt 0x3
	v_fmac_f32_e32 v33, v20, v28
	s_delay_alu instid0(VALU_DEP_1) | instskip(SKIP_3) | instid1(VALU_DEP_1)
	v_fmac_f32_e32 v33, v21, v29
	ds_load_2addr_b32 v[28:29], v13 offset0:192 offset1:224
	s_wait_dscnt 0x3
	v_fmac_f32_e32 v33, v22, v30
	v_fmac_f32_e32 v33, v23, v31
	ds_load_b128 v[20:23], v9 offset:64
	ds_load_2addr_b32 v[30:31], v14 offset1:32
	s_wait_dscnt 0x3
	v_fmac_f32_e32 v33, v24, v5
	s_delay_alu instid0(VALU_DEP_1) | instskip(SKIP_3) | instid1(VALU_DEP_1)
	v_fmac_f32_e32 v33, v25, v6
	ds_load_2addr_b32 v[5:6], v14 offset0:64 offset1:96
	s_wait_dscnt 0x3
	v_fmac_f32_e32 v33, v26, v28
	v_fmac_f32_e32 v33, v27, v29
	ds_load_b128 v[24:27], v9 offset:80
	ds_load_2addr_b32 v[28:29], v14 offset0:128 offset1:160
	s_wait_dscnt 0x3
	v_fmac_f32_e32 v33, v20, v30
	;; [unrolled: 20-line block ×3, first 2 shown]
	s_delay_alu instid0(VALU_DEP_1) | instskip(SKIP_3) | instid1(VALU_DEP_1)
	v_fmac_f32_e32 v33, v21, v6
	ds_load_2addr_b32 v[5:6], v15 offset0:192 offset1:224
	s_wait_dscnt 0x3
	v_fmac_f32_e32 v33, v22, v28
	v_fmac_f32_e32 v33, v23, v29
	s_wait_dscnt 0x1
	s_delay_alu instid0(VALU_DEP_1) | instskip(NEXT) | instid1(VALU_DEP_1)
	v_fmac_f32_e32 v33, v24, v30
	v_fmac_f32_e32 v33, v25, v31
	s_wait_dscnt 0x0
	s_delay_alu instid0(VALU_DEP_1) | instskip(NEXT) | instid1(VALU_DEP_1)
	v_fmac_f32_e32 v33, v26, v5
	v_fmac_f32_e32 v33, v27, v6
	s_wait_loadcnt 0x0
	s_delay_alu instid0(VALU_DEP_1)
	v_fmac_f32_e32 v32, s7, v33
	flat_store_b32 v[3:4], v32
	s_branch .LBB36_9
.LBB36_16:
	s_endpgm
	.section	.rodata,"a",@progbits
	.p2align	6, 0x0
	.amdhsa_kernel _ZL24rocblas_symm_hemm_kernelILb0ELb0ELi32EfPKPKfPKPfEvbiiT2_T3_lllS8_lllT4_llli
		.amdhsa_group_segment_fixed_size 8192
		.amdhsa_private_segment_fixed_size 0
		.amdhsa_kernarg_size 376
		.amdhsa_user_sgpr_count 2
		.amdhsa_user_sgpr_dispatch_ptr 0
		.amdhsa_user_sgpr_queue_ptr 0
		.amdhsa_user_sgpr_kernarg_segment_ptr 1
		.amdhsa_user_sgpr_dispatch_id 0
		.amdhsa_user_sgpr_private_segment_size 0
		.amdhsa_wavefront_size32 1
		.amdhsa_uses_dynamic_stack 0
		.amdhsa_enable_private_segment 0
		.amdhsa_system_sgpr_workgroup_id_x 1
		.amdhsa_system_sgpr_workgroup_id_y 1
		.amdhsa_system_sgpr_workgroup_id_z 1
		.amdhsa_system_sgpr_workgroup_info 0
		.amdhsa_system_vgpr_workitem_id 1
		.amdhsa_next_free_vgpr 34
		.amdhsa_next_free_sgpr 44
		.amdhsa_reserve_vcc 1
		.amdhsa_float_round_mode_32 0
		.amdhsa_float_round_mode_16_64 0
		.amdhsa_float_denorm_mode_32 3
		.amdhsa_float_denorm_mode_16_64 3
		.amdhsa_fp16_overflow 0
		.amdhsa_workgroup_processor_mode 1
		.amdhsa_memory_ordered 1
		.amdhsa_forward_progress 1
		.amdhsa_inst_pref_size 12
		.amdhsa_round_robin_scheduling 0
		.amdhsa_exception_fp_ieee_invalid_op 0
		.amdhsa_exception_fp_denorm_src 0
		.amdhsa_exception_fp_ieee_div_zero 0
		.amdhsa_exception_fp_ieee_overflow 0
		.amdhsa_exception_fp_ieee_underflow 0
		.amdhsa_exception_fp_ieee_inexact 0
		.amdhsa_exception_int_div_zero 0
	.end_amdhsa_kernel
	.section	.text._ZL24rocblas_symm_hemm_kernelILb0ELb0ELi32EfPKPKfPKPfEvbiiT2_T3_lllS8_lllT4_llli,"axG",@progbits,_ZL24rocblas_symm_hemm_kernelILb0ELb0ELi32EfPKPKfPKPfEvbiiT2_T3_lllS8_lllT4_llli,comdat
.Lfunc_end36:
	.size	_ZL24rocblas_symm_hemm_kernelILb0ELb0ELi32EfPKPKfPKPfEvbiiT2_T3_lllS8_lllT4_llli, .Lfunc_end36-_ZL24rocblas_symm_hemm_kernelILb0ELb0ELi32EfPKPKfPKPfEvbiiT2_T3_lllS8_lllT4_llli
                                        ; -- End function
	.set _ZL24rocblas_symm_hemm_kernelILb0ELb0ELi32EfPKPKfPKPfEvbiiT2_T3_lllS8_lllT4_llli.num_vgpr, 34
	.set _ZL24rocblas_symm_hemm_kernelILb0ELb0ELi32EfPKPKfPKPfEvbiiT2_T3_lllS8_lllT4_llli.num_agpr, 0
	.set _ZL24rocblas_symm_hemm_kernelILb0ELb0ELi32EfPKPKfPKPfEvbiiT2_T3_lllS8_lllT4_llli.numbered_sgpr, 44
	.set _ZL24rocblas_symm_hemm_kernelILb0ELb0ELi32EfPKPKfPKPfEvbiiT2_T3_lllS8_lllT4_llli.num_named_barrier, 0
	.set _ZL24rocblas_symm_hemm_kernelILb0ELb0ELi32EfPKPKfPKPfEvbiiT2_T3_lllS8_lllT4_llli.private_seg_size, 0
	.set _ZL24rocblas_symm_hemm_kernelILb0ELb0ELi32EfPKPKfPKPfEvbiiT2_T3_lllS8_lllT4_llli.uses_vcc, 1
	.set _ZL24rocblas_symm_hemm_kernelILb0ELb0ELi32EfPKPKfPKPfEvbiiT2_T3_lllS8_lllT4_llli.uses_flat_scratch, 0
	.set _ZL24rocblas_symm_hemm_kernelILb0ELb0ELi32EfPKPKfPKPfEvbiiT2_T3_lllS8_lllT4_llli.has_dyn_sized_stack, 0
	.set _ZL24rocblas_symm_hemm_kernelILb0ELb0ELi32EfPKPKfPKPfEvbiiT2_T3_lllS8_lllT4_llli.has_recursion, 0
	.set _ZL24rocblas_symm_hemm_kernelILb0ELb0ELi32EfPKPKfPKPfEvbiiT2_T3_lllS8_lllT4_llli.has_indirect_call, 0
	.section	.AMDGPU.csdata,"",@progbits
; Kernel info:
; codeLenInByte = 1456
; TotalNumSgprs: 46
; NumVgprs: 34
; ScratchSize: 0
; MemoryBound: 0
; FloatMode: 240
; IeeeMode: 1
; LDSByteSize: 8192 bytes/workgroup (compile time only)
; SGPRBlocks: 0
; VGPRBlocks: 4
; NumSGPRsForWavesPerEU: 46
; NumVGPRsForWavesPerEU: 34
; Occupancy: 16
; WaveLimiterHint : 1
; COMPUTE_PGM_RSRC2:SCRATCH_EN: 0
; COMPUTE_PGM_RSRC2:USER_SGPR: 2
; COMPUTE_PGM_RSRC2:TRAP_HANDLER: 0
; COMPUTE_PGM_RSRC2:TGID_X_EN: 1
; COMPUTE_PGM_RSRC2:TGID_Y_EN: 1
; COMPUTE_PGM_RSRC2:TGID_Z_EN: 1
; COMPUTE_PGM_RSRC2:TIDIG_COMP_CNT: 1
	.section	.text._ZL24rocblas_symm_hemm_kernelILb0ELb1ELi32EfPKPKfPKPfEvbiiT2_T3_lllS8_lllT4_llli,"axG",@progbits,_ZL24rocblas_symm_hemm_kernelILb0ELb1ELi32EfPKPKfPKPfEvbiiT2_T3_lllS8_lllT4_llli,comdat
	.globl	_ZL24rocblas_symm_hemm_kernelILb0ELb1ELi32EfPKPKfPKPfEvbiiT2_T3_lllS8_lllT4_llli ; -- Begin function _ZL24rocblas_symm_hemm_kernelILb0ELb1ELi32EfPKPKfPKPfEvbiiT2_T3_lllS8_lllT4_llli
	.p2align	8
	.type	_ZL24rocblas_symm_hemm_kernelILb0ELb1ELi32EfPKPKfPKPfEvbiiT2_T3_lllS8_lllT4_llli,@function
_ZL24rocblas_symm_hemm_kernelILb0ELb1ELi32EfPKPKfPKPfEvbiiT2_T3_lllS8_lllT4_llli: ; @_ZL24rocblas_symm_hemm_kernelILb0ELb1ELi32EfPKPKfPKPfEvbiiT2_T3_lllS8_lllT4_llli
; %bb.0:
	s_load_b128 s[4:7], s[0:1], 0x0
	s_wait_kmcnt 0x0
	s_cmp_eq_f32 s7, 0
	s_cbranch_scc1 .LBB37_16
; %bb.1:
	s_load_b32 s30, s[0:1], 0x70
	s_lshr_b32 s20, ttmp7, 16
	s_wait_kmcnt 0x0
	s_cmp_ge_u32 s20, s30
	s_cbranch_scc1 .LBB37_16
; %bb.2:
	s_clause 0x5
	s_load_b128 s[8:11], s[0:1], 0x10
	s_load_b64 s[22:23], s[0:1], 0x20
	s_load_b128 s[12:15], s[0:1], 0x30
	s_load_b64 s[24:25], s[0:1], 0x40
	s_load_b64 s[26:27], s[0:1], 0x60
	s_load_b128 s[16:19], s[0:1], 0x50
	v_and_b32_e32 v7, 0x3ff, v0
	v_bfe_u32 v6, v0, 10, 10
	s_bitcmp1_b32 s4, 0
	s_mov_b32 s21, 0
	s_cselect_b32 s2, -1, 0
	s_add_co_i32 s3, s6, -1
	v_lshl_add_u32 v0, ttmp9, 5, v7
	v_lshlrev_b32_e32 v2, 2, v6
	s_ashr_i32 s4, s3, 31
	v_lshlrev_b32_e32 v8, 7, v7
	s_lshr_b32 s4, s4, 27
	v_ashrrev_i32_e32 v1, 31, v0
	s_add_co_i32 s3, s3, s4
	v_or_b32_e32 v9, 0x1000, v2
	s_and_b32 s31, ttmp7, 0xffff
	s_ashr_i32 s33, s3, 5
	v_cmp_gt_i32_e64 s3, s5, v0
	s_cmp_le_i32 s31, s33
	v_lshlrev_b64_e32 v[0:1], 2, v[0:1]
	v_add_nc_u32_e32 v10, v8, v2
	v_add_nc_u32_e32 v11, v9, v8
	;; [unrolled: 1-line block ×5, first 2 shown]
	s_cselect_b32 s34, -1, 0
	s_cmp_gt_i32 s6, 0
	s_add_nc_u64 s[4:5], s[0:1], 0x78
	s_cselect_b32 s1, -1, 0
	s_wait_kmcnt 0x0
	s_lshl_b64 s[10:11], s[10:11], 2
	s_lshl_b64 s[18:19], s[18:19], 2
	;; [unrolled: 1-line block ×3, first 2 shown]
	s_branch .LBB37_4
.LBB37_3:                               ;   in Loop: Header=BB37_4 Depth=1
	s_add_co_i32 s20, s20, 0x10000
	s_delay_alu instid0(SALU_CYCLE_1)
	s_cmp_lt_u32 s20, s30
	s_cbranch_scc0 .LBB37_16
.LBB37_4:                               ; =>This Loop Header: Depth=1
                                        ;     Child Loop BB37_7 Depth 2
                                        ;       Child Loop BB37_10 Depth 3
	s_and_not1_b32 vcc_lo, exec_lo, s34
	s_wait_alu 0xfffe
	s_cbranch_vccnz .LBB37_3
; %bb.5:                                ;   in Loop: Header=BB37_4 Depth=1
	s_lshl_b64 s[28:29], s[20:21], 3
	s_wait_alu 0xfffe
	s_add_nc_u64 s[36:37], s[16:17], s[28:29]
	s_add_nc_u64 s[38:39], s[12:13], s[28:29]
	s_load_b64 s[36:37], s[36:37], 0x0
	s_load_b64 s[38:39], s[38:39], 0x0
	s_add_nc_u64 s[28:29], s[8:9], s[28:29]
	s_load_b64 s[28:29], s[28:29], 0x0
	s_load_b32 s35, s[4:5], 0x4
	s_wait_kmcnt 0x0
	s_add_nc_u64 s[36:37], s[36:37], s[18:19]
	s_add_nc_u64 s[38:39], s[38:39], s[14:15]
	;; [unrolled: 1-line block ×3, first 2 shown]
	s_wait_alu 0xfffe
	v_add_co_u32 v15, vcc_lo, s38, v0
	s_wait_alu 0xfffd
	v_add_co_ci_u32_e64 v16, null, s39, v1, vcc_lo
	v_add_co_u32 v17, vcc_lo, s36, v0
	s_wait_alu 0xfffd
	v_add_co_ci_u32_e64 v18, null, s37, v1, vcc_lo
	s_mov_b32 s36, s31
	s_branch .LBB37_7
.LBB37_6:                               ;   in Loop: Header=BB37_7 Depth=2
	s_add_co_i32 s36, s36, s35
	s_wait_alu 0xfffe
	s_cmp_gt_i32 s36, s33
	s_cbranch_scc1 .LBB37_3
.LBB37_7:                               ;   Parent Loop BB37_4 Depth=1
                                        ; =>  This Loop Header: Depth=2
                                        ;       Child Loop BB37_10 Depth 3
	s_and_not1_b32 vcc_lo, exec_lo, s1
	s_wait_alu 0xfffe
	s_cbranch_vccnz .LBB37_6
; %bb.8:                                ;   in Loop: Header=BB37_7 Depth=2
	v_lshl_add_u32 v19, s36, 5, v6
	s_mov_b32 s37, 0
	s_delay_alu instid0(VALU_DEP_1) | instskip(SKIP_3) | instid1(VALU_DEP_4)
	v_ashrrev_i32_e32 v4, 31, v19
	v_mul_lo_u32 v5, s27, v19
	v_mad_co_u64_u32 v[2:3], null, s26, v19, 0
	v_cmp_gt_i32_e32 vcc_lo, s6, v19
	v_mul_lo_u32 v4, s26, v4
	s_delay_alu instid0(VALU_DEP_1) | instskip(NEXT) | instid1(VALU_DEP_1)
	v_add3_u32 v3, v3, v4, v5
	v_lshlrev_b64_e32 v[2:3], 2, v[2:3]
	s_delay_alu instid0(VALU_DEP_1) | instskip(SKIP_1) | instid1(VALU_DEP_2)
	v_add_co_u32 v2, s0, v17, v2
	s_wait_alu 0xf1ff
	v_add_co_ci_u32_e64 v3, null, v18, v3, s0
	s_and_b32 s0, s3, vcc_lo
	s_branch .LBB37_10
.LBB37_9:                               ;   in Loop: Header=BB37_10 Depth=3
	s_wait_alu 0xfffe
	s_or_b32 exec_lo, exec_lo, s38
	s_add_co_i32 s37, s37, 32
	s_wait_storecnt 0x0
	s_wait_loadcnt_dscnt 0x0
	s_wait_alu 0xfffe
	s_cmp_ge_i32 s37, s6
	s_barrier_signal -1
	s_barrier_wait -1
	global_inv scope:SCOPE_SE
	s_cbranch_scc1 .LBB37_6
.LBB37_10:                              ;   Parent Loop BB37_4 Depth=1
                                        ;     Parent Loop BB37_7 Depth=2
                                        ; =>    This Inner Loop Header: Depth=3
	s_wait_alu 0xfffe
	v_dual_mov_b32 v5, 0 :: v_dual_add_nc_u32 v4, s37, v6
	v_mov_b32_e32 v20, 0
	s_delay_alu instid0(VALU_DEP_2)
	v_cmp_gt_i32_e32 vcc_lo, s6, v4
	s_and_b32 s39, s3, vcc_lo
	s_wait_alu 0xfffe
	s_and_saveexec_b32 s38, s39
	s_cbranch_execz .LBB37_12
; %bb.11:                               ;   in Loop: Header=BB37_10 Depth=3
	v_ashrrev_i32_e32 v22, 31, v4
	v_mul_lo_u32 v23, s25, v4
	v_mad_co_u64_u32 v[20:21], null, s24, v4, 0
	s_delay_alu instid0(VALU_DEP_3) | instskip(NEXT) | instid1(VALU_DEP_1)
	v_mul_lo_u32 v4, s24, v22
	v_add3_u32 v21, v21, v4, v23
	s_delay_alu instid0(VALU_DEP_1) | instskip(NEXT) | instid1(VALU_DEP_1)
	v_lshlrev_b64_e32 v[20:21], 2, v[20:21]
	v_add_co_u32 v20, vcc_lo, v15, v20
	s_wait_alu 0xfffd
	s_delay_alu instid0(VALU_DEP_2)
	v_add_co_ci_u32_e64 v21, null, v16, v21, vcc_lo
	flat_load_b32 v20, v[20:21]
.LBB37_12:                              ;   in Loop: Header=BB37_10 Depth=3
	s_wait_alu 0xfffe
	s_or_b32 exec_lo, exec_lo, s38
	v_add_nc_u32_e32 v21, s37, v7
	s_mov_b32 s38, exec_lo
	s_wait_loadcnt_dscnt 0x0
	ds_store_b32 v10, v20
	v_cndmask_b32_e64 v4, v19, v21, s2
	v_cndmask_b32_e64 v22, v21, v19, s2
	s_delay_alu instid0(VALU_DEP_1) | instskip(SKIP_2) | instid1(VALU_DEP_1)
	v_cmp_gt_i32_e32 vcc_lo, v4, v22
	s_wait_alu 0xfffd
	v_dual_cndmask_b32 v4, v21, v19 :: v_dual_cndmask_b32 v21, v19, v21
	v_max_i32_e32 v22, v4, v21
	s_delay_alu instid0(VALU_DEP_1)
	v_cmpx_gt_i32_e64 s6, v22
	s_cbranch_execz .LBB37_14
; %bb.13:                               ;   in Loop: Header=BB37_10 Depth=3
	v_ashrrev_i32_e32 v5, 31, v21
	v_mul_lo_u32 v22, s23, v21
	v_mad_co_u64_u32 v[20:21], null, s22, v21, 0
	s_delay_alu instid0(VALU_DEP_3) | instskip(NEXT) | instid1(VALU_DEP_1)
	v_mul_lo_u32 v5, s22, v5
	v_add3_u32 v21, v21, v5, v22
	v_ashrrev_i32_e32 v5, 31, v4
	s_delay_alu instid0(VALU_DEP_2) | instskip(NEXT) | instid1(VALU_DEP_2)
	v_lshlrev_b64_e32 v[20:21], 2, v[20:21]
	v_lshlrev_b64_e32 v[4:5], 2, v[4:5]
	s_delay_alu instid0(VALU_DEP_2) | instskip(SKIP_1) | instid1(VALU_DEP_3)
	v_add_co_u32 v20, vcc_lo, s28, v20
	s_wait_alu 0xfffd
	v_add_co_ci_u32_e64 v21, null, s29, v21, vcc_lo
	s_delay_alu instid0(VALU_DEP_2) | instskip(SKIP_1) | instid1(VALU_DEP_2)
	v_add_co_u32 v4, vcc_lo, v20, v4
	s_wait_alu 0xfffd
	v_add_co_ci_u32_e64 v5, null, v21, v5, vcc_lo
	flat_load_b32 v5, v[4:5]
.LBB37_14:                              ;   in Loop: Header=BB37_10 Depth=3
	s_wait_alu 0xfffe
	s_or_b32 exec_lo, exec_lo, s38
	s_wait_loadcnt_dscnt 0x0
	ds_store_b32 v11, v5
	s_wait_dscnt 0x0
	s_barrier_signal -1
	s_barrier_wait -1
	global_inv scope:SCOPE_SE
	s_and_saveexec_b32 s38, s0
	s_cbranch_execz .LBB37_9
; %bb.15:                               ;   in Loop: Header=BB37_10 Depth=3
	flat_load_b32 v32, v[2:3]
	ds_load_b128 v[20:23], v8
	ds_load_2addr_b32 v[4:5], v9 offset1:32
	ds_load_2addr_b32 v[28:29], v9 offset0:64 offset1:96
	ds_load_b128 v[24:27], v8 offset:16
	ds_load_2addr_b32 v[30:31], v9 offset0:128 offset1:160
	s_wait_dscnt 0x3
	v_fma_f32 v33, v20, v4, 0
	s_delay_alu instid0(VALU_DEP_1) | instskip(SKIP_3) | instid1(VALU_DEP_1)
	v_fmac_f32_e32 v33, v21, v5
	ds_load_2addr_b32 v[4:5], v9 offset0:192 offset1:224
	s_wait_dscnt 0x3
	v_fmac_f32_e32 v33, v22, v28
	v_fmac_f32_e32 v33, v23, v29
	ds_load_b128 v[20:23], v8 offset:32
	ds_load_2addr_b32 v[28:29], v12 offset1:32
	s_wait_dscnt 0x3
	v_fmac_f32_e32 v33, v24, v30
	s_delay_alu instid0(VALU_DEP_1) | instskip(SKIP_3) | instid1(VALU_DEP_1)
	v_fmac_f32_e32 v33, v25, v31
	ds_load_2addr_b32 v[30:31], v12 offset0:64 offset1:96
	s_wait_dscnt 0x3
	v_fmac_f32_e32 v33, v26, v4
	v_fmac_f32_e32 v33, v27, v5
	ds_load_b128 v[24:27], v8 offset:48
	ds_load_2addr_b32 v[4:5], v12 offset0:128 offset1:160
	s_wait_dscnt 0x3
	v_fmac_f32_e32 v33, v20, v28
	s_delay_alu instid0(VALU_DEP_1) | instskip(SKIP_3) | instid1(VALU_DEP_1)
	v_fmac_f32_e32 v33, v21, v29
	ds_load_2addr_b32 v[28:29], v12 offset0:192 offset1:224
	s_wait_dscnt 0x3
	v_fmac_f32_e32 v33, v22, v30
	v_fmac_f32_e32 v33, v23, v31
	ds_load_b128 v[20:23], v8 offset:64
	ds_load_2addr_b32 v[30:31], v13 offset1:32
	s_wait_dscnt 0x3
	v_fmac_f32_e32 v33, v24, v4
	s_delay_alu instid0(VALU_DEP_1) | instskip(SKIP_3) | instid1(VALU_DEP_1)
	v_fmac_f32_e32 v33, v25, v5
	ds_load_2addr_b32 v[4:5], v13 offset0:64 offset1:96
	s_wait_dscnt 0x3
	v_fmac_f32_e32 v33, v26, v28
	v_fmac_f32_e32 v33, v27, v29
	ds_load_b128 v[24:27], v8 offset:80
	ds_load_2addr_b32 v[28:29], v13 offset0:128 offset1:160
	s_wait_dscnt 0x3
	v_fmac_f32_e32 v33, v20, v30
	;; [unrolled: 20-line block ×3, first 2 shown]
	s_delay_alu instid0(VALU_DEP_1) | instskip(SKIP_3) | instid1(VALU_DEP_1)
	v_fmac_f32_e32 v33, v21, v5
	ds_load_2addr_b32 v[4:5], v14 offset0:192 offset1:224
	s_wait_dscnt 0x3
	v_fmac_f32_e32 v33, v22, v28
	v_fmac_f32_e32 v33, v23, v29
	s_wait_dscnt 0x1
	s_delay_alu instid0(VALU_DEP_1) | instskip(NEXT) | instid1(VALU_DEP_1)
	v_fmac_f32_e32 v33, v24, v30
	v_fmac_f32_e32 v33, v25, v31
	s_wait_dscnt 0x0
	s_delay_alu instid0(VALU_DEP_1) | instskip(NEXT) | instid1(VALU_DEP_1)
	v_fmac_f32_e32 v33, v26, v4
	v_fmac_f32_e32 v33, v27, v5
	s_wait_loadcnt 0x0
	s_delay_alu instid0(VALU_DEP_1)
	v_fmac_f32_e32 v32, s7, v33
	flat_store_b32 v[2:3], v32
	s_branch .LBB37_9
.LBB37_16:
	s_endpgm
	.section	.rodata,"a",@progbits
	.p2align	6, 0x0
	.amdhsa_kernel _ZL24rocblas_symm_hemm_kernelILb0ELb1ELi32EfPKPKfPKPfEvbiiT2_T3_lllS8_lllT4_llli
		.amdhsa_group_segment_fixed_size 8192
		.amdhsa_private_segment_fixed_size 0
		.amdhsa_kernarg_size 376
		.amdhsa_user_sgpr_count 2
		.amdhsa_user_sgpr_dispatch_ptr 0
		.amdhsa_user_sgpr_queue_ptr 0
		.amdhsa_user_sgpr_kernarg_segment_ptr 1
		.amdhsa_user_sgpr_dispatch_id 0
		.amdhsa_user_sgpr_private_segment_size 0
		.amdhsa_wavefront_size32 1
		.amdhsa_uses_dynamic_stack 0
		.amdhsa_enable_private_segment 0
		.amdhsa_system_sgpr_workgroup_id_x 1
		.amdhsa_system_sgpr_workgroup_id_y 1
		.amdhsa_system_sgpr_workgroup_id_z 1
		.amdhsa_system_sgpr_workgroup_info 0
		.amdhsa_system_vgpr_workitem_id 1
		.amdhsa_next_free_vgpr 34
		.amdhsa_next_free_sgpr 40
		.amdhsa_reserve_vcc 1
		.amdhsa_float_round_mode_32 0
		.amdhsa_float_round_mode_16_64 0
		.amdhsa_float_denorm_mode_32 3
		.amdhsa_float_denorm_mode_16_64 3
		.amdhsa_fp16_overflow 0
		.amdhsa_workgroup_processor_mode 1
		.amdhsa_memory_ordered 1
		.amdhsa_forward_progress 1
		.amdhsa_inst_pref_size 12
		.amdhsa_round_robin_scheduling 0
		.amdhsa_exception_fp_ieee_invalid_op 0
		.amdhsa_exception_fp_denorm_src 0
		.amdhsa_exception_fp_ieee_div_zero 0
		.amdhsa_exception_fp_ieee_overflow 0
		.amdhsa_exception_fp_ieee_underflow 0
		.amdhsa_exception_fp_ieee_inexact 0
		.amdhsa_exception_int_div_zero 0
	.end_amdhsa_kernel
	.section	.text._ZL24rocblas_symm_hemm_kernelILb0ELb1ELi32EfPKPKfPKPfEvbiiT2_T3_lllS8_lllT4_llli,"axG",@progbits,_ZL24rocblas_symm_hemm_kernelILb0ELb1ELi32EfPKPKfPKPfEvbiiT2_T3_lllS8_lllT4_llli,comdat
.Lfunc_end37:
	.size	_ZL24rocblas_symm_hemm_kernelILb0ELb1ELi32EfPKPKfPKPfEvbiiT2_T3_lllS8_lllT4_llli, .Lfunc_end37-_ZL24rocblas_symm_hemm_kernelILb0ELb1ELi32EfPKPKfPKPfEvbiiT2_T3_lllS8_lllT4_llli
                                        ; -- End function
	.set _ZL24rocblas_symm_hemm_kernelILb0ELb1ELi32EfPKPKfPKPfEvbiiT2_T3_lllS8_lllT4_llli.num_vgpr, 34
	.set _ZL24rocblas_symm_hemm_kernelILb0ELb1ELi32EfPKPKfPKPfEvbiiT2_T3_lllS8_lllT4_llli.num_agpr, 0
	.set _ZL24rocblas_symm_hemm_kernelILb0ELb1ELi32EfPKPKfPKPfEvbiiT2_T3_lllS8_lllT4_llli.numbered_sgpr, 40
	.set _ZL24rocblas_symm_hemm_kernelILb0ELb1ELi32EfPKPKfPKPfEvbiiT2_T3_lllS8_lllT4_llli.num_named_barrier, 0
	.set _ZL24rocblas_symm_hemm_kernelILb0ELb1ELi32EfPKPKfPKPfEvbiiT2_T3_lllS8_lllT4_llli.private_seg_size, 0
	.set _ZL24rocblas_symm_hemm_kernelILb0ELb1ELi32EfPKPKfPKPfEvbiiT2_T3_lllS8_lllT4_llli.uses_vcc, 1
	.set _ZL24rocblas_symm_hemm_kernelILb0ELb1ELi32EfPKPKfPKPfEvbiiT2_T3_lllS8_lllT4_llli.uses_flat_scratch, 0
	.set _ZL24rocblas_symm_hemm_kernelILb0ELb1ELi32EfPKPKfPKPfEvbiiT2_T3_lllS8_lllT4_llli.has_dyn_sized_stack, 0
	.set _ZL24rocblas_symm_hemm_kernelILb0ELb1ELi32EfPKPKfPKPfEvbiiT2_T3_lllS8_lllT4_llli.has_recursion, 0
	.set _ZL24rocblas_symm_hemm_kernelILb0ELb1ELi32EfPKPKfPKPfEvbiiT2_T3_lllS8_lllT4_llli.has_indirect_call, 0
	.section	.AMDGPU.csdata,"",@progbits
; Kernel info:
; codeLenInByte = 1440
; TotalNumSgprs: 42
; NumVgprs: 34
; ScratchSize: 0
; MemoryBound: 0
; FloatMode: 240
; IeeeMode: 1
; LDSByteSize: 8192 bytes/workgroup (compile time only)
; SGPRBlocks: 0
; VGPRBlocks: 4
; NumSGPRsForWavesPerEU: 42
; NumVGPRsForWavesPerEU: 34
; Occupancy: 16
; WaveLimiterHint : 1
; COMPUTE_PGM_RSRC2:SCRATCH_EN: 0
; COMPUTE_PGM_RSRC2:USER_SGPR: 2
; COMPUTE_PGM_RSRC2:TRAP_HANDLER: 0
; COMPUTE_PGM_RSRC2:TGID_X_EN: 1
; COMPUTE_PGM_RSRC2:TGID_Y_EN: 1
; COMPUTE_PGM_RSRC2:TGID_Z_EN: 1
; COMPUTE_PGM_RSRC2:TIDIG_COMP_CNT: 1
	.section	.text._ZL25rocblas_symm_scale_kernelILi128ELi8EPKdPKPdEviiT1_T2_llli,"axG",@progbits,_ZL25rocblas_symm_scale_kernelILi128ELi8EPKdPKPdEviiT1_T2_llli,comdat
	.globl	_ZL25rocblas_symm_scale_kernelILi128ELi8EPKdPKPdEviiT1_T2_llli ; -- Begin function _ZL25rocblas_symm_scale_kernelILi128ELi8EPKdPKPdEviiT1_T2_llli
	.p2align	8
	.type	_ZL25rocblas_symm_scale_kernelILi128ELi8EPKdPKPdEviiT1_T2_llli,@function
_ZL25rocblas_symm_scale_kernelILi128ELi8EPKdPKPdEviiT1_T2_llli: ; @_ZL25rocblas_symm_scale_kernelILi128ELi8EPKdPKPdEviiT1_T2_llli
; %bb.0:
	s_load_b256 s[4:11], s[0:1], 0x8
	s_wait_kmcnt 0x0
	s_load_b64 s[4:5], s[4:5], 0x0
	s_wait_kmcnt 0x0
	v_cmp_eq_f64_e64 s2, s[4:5], 1.0
	s_and_b32 vcc_lo, exec_lo, s2
	s_cbranch_vccnz .LBB38_10
; %bb.1:
	s_load_b32 s18, s[0:1], 0x30
	s_lshr_b32 s12, ttmp7, 16
	s_wait_kmcnt 0x0
	s_cmp_ge_u32 s12, s18
	s_cbranch_scc1 .LBB38_10
; %bb.2:
	v_bfe_u32 v1, v0, 10, 10
	s_and_b32 s2, ttmp7, 0xffff
	v_cmp_neq_f64_e64 s20, s[4:5], 0
	v_and_b32_e32 v0, 0x3ff, v0
	s_lshl_b64 s[14:15], s[8:9], 3
	v_lshl_add_u32 v1, s2, 3, v1
	s_load_b64 s[2:3], s[0:1], 0x0
	s_delay_alu instid0(VALU_DEP_1) | instskip(NEXT) | instid1(VALU_DEP_1)
	v_mad_co_u64_u32 v[3:4], null, s10, v1, 0
	v_mov_b32_e32 v2, v4
	s_delay_alu instid0(VALU_DEP_1)
	v_mad_co_u64_u32 v[4:5], null, s11, v1, v[2:3]
	v_mov_b32_e32 v2, 0
	v_lshl_add_u32 v5, ttmp9, 7, v0
	s_wait_kmcnt 0x0
	s_ashr_i32 s9, s3, 31
	s_mov_b32 s8, s3
	s_lshl_b64 s[10:11], s[10:11], 3
	v_mov_b32_e32 v6, v2
	v_lshlrev_b64_e32 v[3:4], 3, v[3:4]
	v_cmp_gt_i64_e32 vcc_lo, s[8:9], v[1:2]
	v_cmp_gt_u32_e64 s2, s2, v5
	s_delay_alu instid0(VALU_DEP_4) | instskip(NEXT) | instid1(VALU_DEP_4)
	v_lshlrev_b64_e32 v[6:7], 3, v[5:6]
	v_add_co_u32 v0, s3, v3, s14
	s_wait_alu 0xf1ff
	v_add_co_ci_u32_e64 v3, null, s15, v4, s3
	s_and_b32 s19, s2, vcc_lo
	v_add_co_u32 v0, vcc_lo, v0, v6
	s_delay_alu instid0(VALU_DEP_1)
	v_add_co_ci_u32_e64 v9, null, v3, v7, vcc_lo
	s_add_nc_u64 s[2:3], s[0:1], 56
	s_mov_b32 s15, 0
	s_branch .LBB38_4
.LBB38_3:                               ;   in Loop: Header=BB38_4 Depth=1
	s_wait_alu 0xfffe
	s_or_b32 exec_lo, exec_lo, s1
	s_add_co_i32 s12, s12, 0x10000
	s_delay_alu instid0(SALU_CYCLE_1)
	s_cmp_lt_u32 s12, s18
	s_cbranch_scc0 .LBB38_10
.LBB38_4:                               ; =>This Loop Header: Depth=1
                                        ;     Child Loop BB38_8 Depth 2
	s_and_saveexec_b32 s1, s19
	s_cbranch_execz .LBB38_3
; %bb.5:                                ;   in Loop: Header=BB38_4 Depth=1
	s_wait_alu 0xfffe
	s_mov_b32 s13, s15
	s_load_b32 s0, s[2:3], 0x4
	s_lshl_b64 s[16:17], s[12:13], 3
	v_dual_mov_b32 v6, v2 :: v_dual_mov_b32 v5, v1
	s_wait_alu 0xfffe
	s_add_nc_u64 s[16:17], s[6:7], s[16:17]
	s_mov_b32 s13, 0
	s_load_b64 s[16:17], s[16:17], 0x0
	s_wait_kmcnt 0x0
	s_lshl_b32 s14, s0, 3
	v_add_co_u32 v3, vcc_lo, s16, v0
	s_wait_alu 0xfffd
	v_add_co_ci_u32_e64 v4, null, s17, v9, vcc_lo
	s_wait_alu 0xfffe
	s_mul_u64 s[16:17], s[10:11], s[14:15]
	s_branch .LBB38_8
.LBB38_6:                               ;   in Loop: Header=BB38_8 Depth=2
	flat_load_b64 v[7:8], v[3:4]
	s_wait_loadcnt_dscnt 0x0
	v_mul_f64_e32 v[7:8], s[4:5], v[7:8]
.LBB38_7:                               ;   in Loop: Header=BB38_8 Depth=2
	v_add_co_u32 v5, vcc_lo, v5, s14
	s_wait_alu 0xfffd
	v_add_co_ci_u32_e64 v6, null, 0, v6, vcc_lo
	flat_store_b64 v[3:4], v[7:8]
	v_add_co_u32 v3, s0, v3, s16
	v_cmp_le_i64_e32 vcc_lo, s[8:9], v[5:6]
	s_wait_alu 0xf1ff
	v_add_co_ci_u32_e64 v4, null, s17, v4, s0
	s_or_b32 s13, vcc_lo, s13
	s_delay_alu instid0(SALU_CYCLE_1)
	s_and_not1_b32 exec_lo, exec_lo, s13
	s_cbranch_execz .LBB38_3
.LBB38_8:                               ;   Parent Loop BB38_4 Depth=1
                                        ; =>  This Inner Loop Header: Depth=2
	s_and_not1_b32 vcc_lo, exec_lo, s20
	s_wait_alu 0xfffe
	s_cbranch_vccz .LBB38_6
; %bb.9:                                ;   in Loop: Header=BB38_8 Depth=2
	v_mov_b32_e32 v7, 0
	v_mov_b32_e32 v8, 0
	s_branch .LBB38_7
.LBB38_10:
	s_endpgm
	.section	.rodata,"a",@progbits
	.p2align	6, 0x0
	.amdhsa_kernel _ZL25rocblas_symm_scale_kernelILi128ELi8EPKdPKPdEviiT1_T2_llli
		.amdhsa_group_segment_fixed_size 0
		.amdhsa_private_segment_fixed_size 0
		.amdhsa_kernarg_size 312
		.amdhsa_user_sgpr_count 2
		.amdhsa_user_sgpr_dispatch_ptr 0
		.amdhsa_user_sgpr_queue_ptr 0
		.amdhsa_user_sgpr_kernarg_segment_ptr 1
		.amdhsa_user_sgpr_dispatch_id 0
		.amdhsa_user_sgpr_private_segment_size 0
		.amdhsa_wavefront_size32 1
		.amdhsa_uses_dynamic_stack 0
		.amdhsa_enable_private_segment 0
		.amdhsa_system_sgpr_workgroup_id_x 1
		.amdhsa_system_sgpr_workgroup_id_y 1
		.amdhsa_system_sgpr_workgroup_id_z 1
		.amdhsa_system_sgpr_workgroup_info 0
		.amdhsa_system_vgpr_workitem_id 1
		.amdhsa_next_free_vgpr 10
		.amdhsa_next_free_sgpr 21
		.amdhsa_reserve_vcc 1
		.amdhsa_float_round_mode_32 0
		.amdhsa_float_round_mode_16_64 0
		.amdhsa_float_denorm_mode_32 3
		.amdhsa_float_denorm_mode_16_64 3
		.amdhsa_fp16_overflow 0
		.amdhsa_workgroup_processor_mode 1
		.amdhsa_memory_ordered 1
		.amdhsa_forward_progress 1
		.amdhsa_inst_pref_size 4
		.amdhsa_round_robin_scheduling 0
		.amdhsa_exception_fp_ieee_invalid_op 0
		.amdhsa_exception_fp_denorm_src 0
		.amdhsa_exception_fp_ieee_div_zero 0
		.amdhsa_exception_fp_ieee_overflow 0
		.amdhsa_exception_fp_ieee_underflow 0
		.amdhsa_exception_fp_ieee_inexact 0
		.amdhsa_exception_int_div_zero 0
	.end_amdhsa_kernel
	.section	.text._ZL25rocblas_symm_scale_kernelILi128ELi8EPKdPKPdEviiT1_T2_llli,"axG",@progbits,_ZL25rocblas_symm_scale_kernelILi128ELi8EPKdPKPdEviiT1_T2_llli,comdat
.Lfunc_end38:
	.size	_ZL25rocblas_symm_scale_kernelILi128ELi8EPKdPKPdEviiT1_T2_llli, .Lfunc_end38-_ZL25rocblas_symm_scale_kernelILi128ELi8EPKdPKPdEviiT1_T2_llli
                                        ; -- End function
	.set _ZL25rocblas_symm_scale_kernelILi128ELi8EPKdPKPdEviiT1_T2_llli.num_vgpr, 10
	.set _ZL25rocblas_symm_scale_kernelILi128ELi8EPKdPKPdEviiT1_T2_llli.num_agpr, 0
	.set _ZL25rocblas_symm_scale_kernelILi128ELi8EPKdPKPdEviiT1_T2_llli.numbered_sgpr, 21
	.set _ZL25rocblas_symm_scale_kernelILi128ELi8EPKdPKPdEviiT1_T2_llli.num_named_barrier, 0
	.set _ZL25rocblas_symm_scale_kernelILi128ELi8EPKdPKPdEviiT1_T2_llli.private_seg_size, 0
	.set _ZL25rocblas_symm_scale_kernelILi128ELi8EPKdPKPdEviiT1_T2_llli.uses_vcc, 1
	.set _ZL25rocblas_symm_scale_kernelILi128ELi8EPKdPKPdEviiT1_T2_llli.uses_flat_scratch, 0
	.set _ZL25rocblas_symm_scale_kernelILi128ELi8EPKdPKPdEviiT1_T2_llli.has_dyn_sized_stack, 0
	.set _ZL25rocblas_symm_scale_kernelILi128ELi8EPKdPKPdEviiT1_T2_llli.has_recursion, 0
	.set _ZL25rocblas_symm_scale_kernelILi128ELi8EPKdPKPdEviiT1_T2_llli.has_indirect_call, 0
	.section	.AMDGPU.csdata,"",@progbits
; Kernel info:
; codeLenInByte = 500
; TotalNumSgprs: 23
; NumVgprs: 10
; ScratchSize: 0
; MemoryBound: 1
; FloatMode: 240
; IeeeMode: 1
; LDSByteSize: 0 bytes/workgroup (compile time only)
; SGPRBlocks: 0
; VGPRBlocks: 1
; NumSGPRsForWavesPerEU: 23
; NumVGPRsForWavesPerEU: 10
; Occupancy: 16
; WaveLimiterHint : 0
; COMPUTE_PGM_RSRC2:SCRATCH_EN: 0
; COMPUTE_PGM_RSRC2:USER_SGPR: 2
; COMPUTE_PGM_RSRC2:TRAP_HANDLER: 0
; COMPUTE_PGM_RSRC2:TGID_X_EN: 1
; COMPUTE_PGM_RSRC2:TGID_Y_EN: 1
; COMPUTE_PGM_RSRC2:TGID_Z_EN: 1
; COMPUTE_PGM_RSRC2:TIDIG_COMP_CNT: 1
	.section	.text._ZL24rocblas_symm_hemm_kernelILb0ELb0ELi32EPKdPKS1_PKPdEvbiiT2_T3_lllS8_lllT4_llli,"axG",@progbits,_ZL24rocblas_symm_hemm_kernelILb0ELb0ELi32EPKdPKS1_PKPdEvbiiT2_T3_lllS8_lllT4_llli,comdat
	.globl	_ZL24rocblas_symm_hemm_kernelILb0ELb0ELi32EPKdPKS1_PKPdEvbiiT2_T3_lllS8_lllT4_llli ; -- Begin function _ZL24rocblas_symm_hemm_kernelILb0ELb0ELi32EPKdPKS1_PKPdEvbiiT2_T3_lllS8_lllT4_llli
	.p2align	8
	.type	_ZL24rocblas_symm_hemm_kernelILb0ELb0ELi32EPKdPKS1_PKPdEvbiiT2_T3_lllS8_lllT4_llli,@function
_ZL24rocblas_symm_hemm_kernelILb0ELb0ELi32EPKdPKS1_PKPdEvbiiT2_T3_lllS8_lllT4_llli: ; @_ZL24rocblas_symm_hemm_kernelILb0ELb0ELi32EPKdPKS1_PKPdEvbiiT2_T3_lllS8_lllT4_llli
; %bb.0:
	s_load_b256 s[4:11], s[0:1], 0x10
	s_wait_kmcnt 0x0
	s_load_b64 s[4:5], s[4:5], 0x0
	s_wait_kmcnt 0x0
	v_cmp_eq_f64_e64 s2, s[4:5], 0
	s_and_b32 vcc_lo, exec_lo, s2
	s_cbranch_vccnz .LBB39_16
; %bb.1:
	s_load_b32 s3, s[0:1], 0x78
	s_lshr_b32 s24, ttmp7, 16
	s_wait_kmcnt 0x0
	s_cmp_ge_u32 s24, s3
	s_cbranch_scc1 .LBB39_16
; %bb.2:
	s_clause 0x4
	s_load_b96 s[20:22], s[0:1], 0x0
	s_load_b128 s[12:15], s[0:1], 0x38
	s_load_b64 s[26:27], s[0:1], 0x68
	s_load_b64 s[28:29], s[0:1], 0x48
	s_load_b128 s[16:19], s[0:1], 0x58
	v_and_b32_e32 v10, 0x3ff, v0
	v_bfe_u32 v11, v0, 10, 10
	s_add_nc_u64 s[30:31], s[0:1], 0x80
	s_mov_b32 s25, 0
	s_delay_alu instid0(VALU_DEP_2) | instskip(NEXT) | instid1(VALU_DEP_2)
	v_lshlrev_b32_e32 v12, 8, v10
	v_lshlrev_b32_e32 v1, 3, v11
	v_lshl_add_u32 v0, ttmp9, 5, v10
	s_delay_alu instid0(VALU_DEP_2) | instskip(SKIP_1) | instid1(VALU_DEP_3)
	v_add_nc_u32_e32 v13, v12, v1
	v_or_b32_e32 v14, 0x2000, v1
	v_ashrrev_i32_e32 v1, 31, v0
	s_delay_alu instid0(VALU_DEP_2) | instskip(SKIP_2) | instid1(VALU_DEP_2)
	v_add_nc_u32_e32 v15, v14, v12
	s_wait_kmcnt 0x0
	s_bitcmp1_b32 s20, 0
	v_lshlrev_b64_e32 v[1:2], 3, v[0:1]
	s_cselect_b32 s0, -1, 0
	s_add_co_i32 s1, s22, -1
	s_wait_alu 0xfffe
	s_and_b32 s20, ttmp7, 0xffff
	s_ashr_i32 s2, s1, 31
	v_add_nc_u32_e32 v16, 0x800, v14
	s_lshr_b32 s2, s2, 27
	v_add_nc_u32_e32 v17, 0x1000, v14
	s_add_co_i32 s1, s1, s2
	v_add_nc_u32_e32 v18, 0x1800, v14
	s_wait_alu 0xfffe
	s_ashr_i32 s23, s1, 5
	v_cmp_gt_i32_e64 s1, s21, v0
	s_cmp_le_i32 s20, s23
	s_cselect_b32 s33, -1, 0
	s_cmp_gt_i32 s21, 0
	s_cselect_b32 s38, -1, 0
	s_lshl_b64 s[8:9], s[8:9], 3
	s_lshl_b64 s[14:15], s[14:15], 3
	;; [unrolled: 1-line block ×3, first 2 shown]
	s_branch .LBB39_4
.LBB39_3:                               ;   in Loop: Header=BB39_4 Depth=1
	s_add_co_i32 s24, s24, 0x10000
	s_delay_alu instid0(SALU_CYCLE_1)
	s_cmp_lt_u32 s24, s3
	s_cbranch_scc0 .LBB39_16
.LBB39_4:                               ; =>This Loop Header: Depth=1
                                        ;     Child Loop BB39_7 Depth 2
                                        ;       Child Loop BB39_10 Depth 3
	s_and_not1_b32 vcc_lo, exec_lo, s33
	s_wait_alu 0xfffe
	s_cbranch_vccnz .LBB39_3
; %bb.5:                                ;   in Loop: Header=BB39_4 Depth=1
	s_lshl_b64 s[34:35], s[24:25], 3
	s_wait_alu 0xfffe
	s_add_nc_u64 s[36:37], s[16:17], s[34:35]
	s_add_nc_u64 s[40:41], s[6:7], s[34:35]
	s_load_b64 s[36:37], s[36:37], 0x0
	s_add_nc_u64 s[34:35], s[12:13], s[34:35]
	s_load_b64 s[40:41], s[40:41], 0x0
	s_load_b64 s[42:43], s[34:35], 0x0
	s_load_b32 s39, s[30:31], 0x4
	s_wait_kmcnt 0x0
	s_add_nc_u64 s[34:35], s[36:37], s[18:19]
	s_add_nc_u64 s[36:37], s[42:43], s[14:15]
	s_wait_alu 0xfffe
	v_add_co_u32 v19, vcc_lo, s34, v1
	s_wait_alu 0xfffd
	v_add_co_ci_u32_e64 v20, null, s35, v2, vcc_lo
	s_add_nc_u64 s[34:35], s[40:41], s[8:9]
	s_mov_b32 s40, s20
	s_branch .LBB39_7
.LBB39_6:                               ;   in Loop: Header=BB39_7 Depth=2
	s_add_co_i32 s40, s40, s39
	s_wait_alu 0xfffe
	s_cmp_gt_i32 s40, s23
	s_cbranch_scc1 .LBB39_3
.LBB39_7:                               ;   Parent Loop BB39_4 Depth=1
                                        ; =>  This Loop Header: Depth=2
                                        ;       Child Loop BB39_10 Depth 3
	s_and_not1_b32 vcc_lo, exec_lo, s38
	s_wait_alu 0xfffe
	s_cbranch_vccnz .LBB39_6
; %bb.8:                                ;   in Loop: Header=BB39_7 Depth=2
	v_lshl_add_u32 v7, s40, 5, v11
	s_mov_b32 s42, 0
	s_delay_alu instid0(VALU_DEP_1) | instskip(SKIP_3) | instid1(VALU_DEP_4)
	v_ashrrev_i32_e32 v8, 31, v7
	v_mul_lo_u32 v9, s29, v7
	v_mad_co_u64_u32 v[3:4], null, s28, v7, 0
	v_mul_lo_u32 v22, s27, v7
	v_mul_lo_u32 v21, s28, v8
	v_mad_co_u64_u32 v[5:6], null, s26, v7, 0
	v_mul_lo_u32 v8, s26, v8
	v_cmp_gt_i32_e32 vcc_lo, s22, v7
	s_delay_alu instid0(VALU_DEP_4) | instskip(SKIP_1) | instid1(VALU_DEP_3)
	v_add3_u32 v4, v4, v21, v9
	s_and_b32 s41, s1, vcc_lo
	v_add3_u32 v6, v6, v8, v22
	s_delay_alu instid0(VALU_DEP_2) | instskip(NEXT) | instid1(VALU_DEP_2)
	v_lshlrev_b64_e32 v[3:4], 3, v[3:4]
	v_lshlrev_b64_e32 v[5:6], 3, v[5:6]
	s_delay_alu instid0(VALU_DEP_2) | instskip(SKIP_1) | instid1(VALU_DEP_3)
	v_add_co_u32 v21, s2, s36, v3
	s_wait_alu 0xf1ff
	v_add_co_ci_u32_e64 v22, null, s37, v4, s2
	s_delay_alu instid0(VALU_DEP_3)
	v_add_co_u32 v3, s2, v19, v5
	s_wait_alu 0xf1ff
	v_add_co_ci_u32_e64 v4, null, v20, v6, s2
	s_branch .LBB39_10
.LBB39_9:                               ;   in Loop: Header=BB39_10 Depth=3
	s_wait_alu 0xfffe
	s_or_b32 exec_lo, exec_lo, s2
	s_add_co_i32 s42, s42, 32
	s_wait_storecnt 0x0
	s_wait_loadcnt_dscnt 0x0
	s_wait_alu 0xfffe
	s_cmp_ge_i32 s42, s21
	s_barrier_signal -1
	s_barrier_wait -1
	global_inv scope:SCOPE_SE
	s_cbranch_scc1 .LBB39_6
.LBB39_10:                              ;   Parent Loop BB39_4 Depth=1
                                        ;     Parent Loop BB39_7 Depth=2
                                        ; =>    This Inner Loop Header: Depth=3
	s_wait_alu 0xfffe
	v_dual_mov_b32 v8, 0 :: v_dual_add_nc_u32 v5, s42, v11
	s_mov_b32 s43, exec_lo
	v_mov_b32_e32 v9, 0
	s_delay_alu instid0(VALU_DEP_2) | instskip(SKIP_1) | instid1(VALU_DEP_1)
	v_cndmask_b32_e64 v6, v5, v0, s0
	v_cndmask_b32_e64 v7, v0, v5, s0
	v_cmp_gt_i32_e64 s2, v6, v7
	s_wait_alu 0xf1ff
	s_delay_alu instid0(VALU_DEP_1) | instskip(SKIP_3) | instid1(VALU_DEP_3)
	v_cndmask_b32_e64 v7, v0, v5, s2
	v_cndmask_b32_e64 v23, v5, v0, s2
	v_mov_b32_e32 v5, 0
	v_mov_b32_e32 v6, 0
	v_max_i32_e32 v24, v7, v23
	s_delay_alu instid0(VALU_DEP_1)
	v_cmpx_gt_i32_e64 s21, v24
	s_cbranch_execz .LBB39_12
; %bb.11:                               ;   in Loop: Header=BB39_10 Depth=3
	v_ashrrev_i32_e32 v8, 31, v23
	v_mul_lo_u32 v9, s11, v23
	v_mad_co_u64_u32 v[23:24], null, s10, v23, 0
	s_delay_alu instid0(VALU_DEP_3) | instskip(NEXT) | instid1(VALU_DEP_1)
	v_mul_lo_u32 v8, s10, v8
	v_add3_u32 v24, v24, v8, v9
	v_ashrrev_i32_e32 v8, 31, v7
	s_delay_alu instid0(VALU_DEP_2) | instskip(NEXT) | instid1(VALU_DEP_2)
	v_lshlrev_b64_e32 v[23:24], 3, v[23:24]
	v_lshlrev_b64_e32 v[7:8], 3, v[7:8]
	s_delay_alu instid0(VALU_DEP_2) | instskip(SKIP_1) | instid1(VALU_DEP_3)
	v_add_co_u32 v9, s2, s34, v23
	s_wait_alu 0xf1ff
	v_add_co_ci_u32_e64 v23, null, s35, v24, s2
	s_delay_alu instid0(VALU_DEP_2) | instskip(SKIP_1) | instid1(VALU_DEP_2)
	v_add_co_u32 v7, s2, v9, v7
	s_wait_alu 0xf1ff
	v_add_co_ci_u32_e64 v8, null, v23, v8, s2
	flat_load_b64 v[8:9], v[7:8]
.LBB39_12:                              ;   in Loop: Header=BB39_10 Depth=3
	s_wait_alu 0xfffe
	s_or_b32 exec_lo, exec_lo, s43
	v_add_nc_u32_e32 v7, s42, v10
	s_wait_loadcnt_dscnt 0x0
	ds_store_b64 v13, v[8:9]
	v_cmp_gt_i32_e64 s2, s21, v7
	s_and_b32 s2, s2, vcc_lo
	s_wait_alu 0xfffe
	s_and_saveexec_b32 s43, s2
	s_cbranch_execz .LBB39_14
; %bb.13:                               ;   in Loop: Header=BB39_10 Depth=3
	v_ashrrev_i32_e32 v8, 31, v7
	s_delay_alu instid0(VALU_DEP_1) | instskip(NEXT) | instid1(VALU_DEP_1)
	v_lshlrev_b64_e32 v[5:6], 3, v[7:8]
	v_add_co_u32 v5, s2, v21, v5
	s_wait_alu 0xf1ff
	s_delay_alu instid0(VALU_DEP_2)
	v_add_co_ci_u32_e64 v6, null, v22, v6, s2
	flat_load_b64 v[5:6], v[5:6]
.LBB39_14:                              ;   in Loop: Header=BB39_10 Depth=3
	s_wait_alu 0xfffe
	s_or_b32 exec_lo, exec_lo, s43
	s_wait_loadcnt_dscnt 0x0
	ds_store_b64 v15, v[5:6]
	s_wait_dscnt 0x0
	s_barrier_signal -1
	s_barrier_wait -1
	global_inv scope:SCOPE_SE
	s_and_saveexec_b32 s2, s41
	s_cbranch_execz .LBB39_9
; %bb.15:                               ;   in Loop: Header=BB39_10 Depth=3
	ds_load_2addr_b64 v[5:8], v14 offset1:32
	ds_load_b128 v[23:26], v12
	ds_load_b128 v[27:30], v12 offset:16
	s_wait_dscnt 0x1
	v_fma_f64 v[5:6], v[23:24], v[5:6], 0
	s_delay_alu instid0(VALU_DEP_1) | instskip(SKIP_3) | instid1(VALU_DEP_1)
	v_fma_f64 v[23:24], v[25:26], v[7:8], v[5:6]
	ds_load_2addr_b64 v[5:8], v14 offset0:64 offset1:96
	s_wait_dscnt 0x0
	v_fma_f64 v[5:6], v[27:28], v[5:6], v[23:24]
	v_fma_f64 v[31:32], v[29:30], v[7:8], v[5:6]
	ds_load_2addr_b64 v[5:8], v14 offset0:128 offset1:160
	ds_load_b128 v[23:26], v12 offset:32
	ds_load_b128 v[27:30], v12 offset:48
	s_wait_dscnt 0x1
	v_fma_f64 v[5:6], v[23:24], v[5:6], v[31:32]
	s_delay_alu instid0(VALU_DEP_1) | instskip(SKIP_3) | instid1(VALU_DEP_1)
	v_fma_f64 v[23:24], v[25:26], v[7:8], v[5:6]
	ds_load_2addr_b64 v[5:8], v14 offset0:192 offset1:224
	s_wait_dscnt 0x0
	v_fma_f64 v[5:6], v[27:28], v[5:6], v[23:24]
	v_fma_f64 v[31:32], v[29:30], v[7:8], v[5:6]
	ds_load_2addr_b64 v[5:8], v16 offset1:32
	ds_load_b128 v[23:26], v12 offset:64
	ds_load_b128 v[27:30], v12 offset:80
	s_wait_dscnt 0x1
	v_fma_f64 v[5:6], v[23:24], v[5:6], v[31:32]
	s_delay_alu instid0(VALU_DEP_1) | instskip(SKIP_3) | instid1(VALU_DEP_1)
	v_fma_f64 v[23:24], v[25:26], v[7:8], v[5:6]
	ds_load_2addr_b64 v[5:8], v16 offset0:64 offset1:96
	s_wait_dscnt 0x0
	v_fma_f64 v[5:6], v[27:28], v[5:6], v[23:24]
	v_fma_f64 v[31:32], v[29:30], v[7:8], v[5:6]
	ds_load_2addr_b64 v[5:8], v16 offset0:128 offset1:160
	ds_load_b128 v[23:26], v12 offset:96
	ds_load_b128 v[27:30], v12 offset:112
	s_wait_dscnt 0x1
	v_fma_f64 v[5:6], v[23:24], v[5:6], v[31:32]
	s_delay_alu instid0(VALU_DEP_1) | instskip(SKIP_3) | instid1(VALU_DEP_1)
	v_fma_f64 v[23:24], v[25:26], v[7:8], v[5:6]
	ds_load_2addr_b64 v[5:8], v16 offset0:192 offset1:224
	s_wait_dscnt 0x0
	v_fma_f64 v[5:6], v[27:28], v[5:6], v[23:24]
	v_fma_f64 v[31:32], v[29:30], v[7:8], v[5:6]
	ds_load_2addr_b64 v[5:8], v17 offset1:32
	ds_load_b128 v[23:26], v12 offset:128
	ds_load_b128 v[27:30], v12 offset:144
	s_wait_dscnt 0x1
	v_fma_f64 v[5:6], v[23:24], v[5:6], v[31:32]
	s_delay_alu instid0(VALU_DEP_1) | instskip(SKIP_3) | instid1(VALU_DEP_1)
	v_fma_f64 v[23:24], v[25:26], v[7:8], v[5:6]
	ds_load_2addr_b64 v[5:8], v17 offset0:64 offset1:96
	s_wait_dscnt 0x0
	v_fma_f64 v[5:6], v[27:28], v[5:6], v[23:24]
	v_fma_f64 v[31:32], v[29:30], v[7:8], v[5:6]
	ds_load_2addr_b64 v[5:8], v17 offset0:128 offset1:160
	ds_load_b128 v[23:26], v12 offset:160
	ds_load_b128 v[27:30], v12 offset:176
	s_wait_dscnt 0x1
	v_fma_f64 v[5:6], v[23:24], v[5:6], v[31:32]
	s_delay_alu instid0(VALU_DEP_1) | instskip(SKIP_3) | instid1(VALU_DEP_1)
	v_fma_f64 v[23:24], v[25:26], v[7:8], v[5:6]
	ds_load_2addr_b64 v[5:8], v17 offset0:192 offset1:224
	s_wait_dscnt 0x0
	v_fma_f64 v[5:6], v[27:28], v[5:6], v[23:24]
	v_fma_f64 v[31:32], v[29:30], v[7:8], v[5:6]
	ds_load_b128 v[5:8], v12 offset:192
	ds_load_2addr_b64 v[23:26], v18 offset1:32
	flat_load_b64 v[33:34], v[3:4]
	ds_load_b128 v[27:30], v12 offset:208
	s_wait_dscnt 0x2
	v_fma_f64 v[5:6], v[5:6], v[23:24], v[31:32]
	s_delay_alu instid0(VALU_DEP_1) | instskip(SKIP_3) | instid1(VALU_DEP_1)
	v_fma_f64 v[23:24], v[7:8], v[25:26], v[5:6]
	ds_load_2addr_b64 v[5:8], v18 offset0:64 offset1:96
	s_wait_dscnt 0x0
	v_fma_f64 v[5:6], v[27:28], v[5:6], v[23:24]
	v_fma_f64 v[31:32], v[29:30], v[7:8], v[5:6]
	ds_load_2addr_b64 v[5:8], v18 offset0:128 offset1:160
	ds_load_b128 v[23:26], v12 offset:224
	ds_load_b128 v[27:30], v12 offset:240
	s_wait_dscnt 0x1
	v_fma_f64 v[5:6], v[23:24], v[5:6], v[31:32]
	s_delay_alu instid0(VALU_DEP_1) | instskip(SKIP_3) | instid1(VALU_DEP_1)
	v_fma_f64 v[23:24], v[25:26], v[7:8], v[5:6]
	ds_load_2addr_b64 v[5:8], v18 offset0:192 offset1:224
	s_wait_dscnt 0x0
	v_fma_f64 v[5:6], v[27:28], v[5:6], v[23:24]
	v_fma_f64 v[5:6], v[29:30], v[7:8], v[5:6]
	s_wait_loadcnt 0x0
	s_delay_alu instid0(VALU_DEP_1)
	v_fma_f64 v[5:6], s[4:5], v[5:6], v[33:34]
	flat_store_b64 v[3:4], v[5:6]
	s_branch .LBB39_9
.LBB39_16:
	s_endpgm
	.section	.rodata,"a",@progbits
	.p2align	6, 0x0
	.amdhsa_kernel _ZL24rocblas_symm_hemm_kernelILb0ELb0ELi32EPKdPKS1_PKPdEvbiiT2_T3_lllS8_lllT4_llli
		.amdhsa_group_segment_fixed_size 16384
		.amdhsa_private_segment_fixed_size 0
		.amdhsa_kernarg_size 384
		.amdhsa_user_sgpr_count 2
		.amdhsa_user_sgpr_dispatch_ptr 0
		.amdhsa_user_sgpr_queue_ptr 0
		.amdhsa_user_sgpr_kernarg_segment_ptr 1
		.amdhsa_user_sgpr_dispatch_id 0
		.amdhsa_user_sgpr_private_segment_size 0
		.amdhsa_wavefront_size32 1
		.amdhsa_uses_dynamic_stack 0
		.amdhsa_enable_private_segment 0
		.amdhsa_system_sgpr_workgroup_id_x 1
		.amdhsa_system_sgpr_workgroup_id_y 1
		.amdhsa_system_sgpr_workgroup_id_z 1
		.amdhsa_system_sgpr_workgroup_info 0
		.amdhsa_system_vgpr_workitem_id 1
		.amdhsa_next_free_vgpr 35
		.amdhsa_next_free_sgpr 44
		.amdhsa_reserve_vcc 1
		.amdhsa_float_round_mode_32 0
		.amdhsa_float_round_mode_16_64 0
		.amdhsa_float_denorm_mode_32 3
		.amdhsa_float_denorm_mode_16_64 3
		.amdhsa_fp16_overflow 0
		.amdhsa_workgroup_processor_mode 1
		.amdhsa_memory_ordered 1
		.amdhsa_forward_progress 1
		.amdhsa_inst_pref_size 14
		.amdhsa_round_robin_scheduling 0
		.amdhsa_exception_fp_ieee_invalid_op 0
		.amdhsa_exception_fp_denorm_src 0
		.amdhsa_exception_fp_ieee_div_zero 0
		.amdhsa_exception_fp_ieee_overflow 0
		.amdhsa_exception_fp_ieee_underflow 0
		.amdhsa_exception_fp_ieee_inexact 0
		.amdhsa_exception_int_div_zero 0
	.end_amdhsa_kernel
	.section	.text._ZL24rocblas_symm_hemm_kernelILb0ELb0ELi32EPKdPKS1_PKPdEvbiiT2_T3_lllS8_lllT4_llli,"axG",@progbits,_ZL24rocblas_symm_hemm_kernelILb0ELb0ELi32EPKdPKS1_PKPdEvbiiT2_T3_lllS8_lllT4_llli,comdat
.Lfunc_end39:
	.size	_ZL24rocblas_symm_hemm_kernelILb0ELb0ELi32EPKdPKS1_PKPdEvbiiT2_T3_lllS8_lllT4_llli, .Lfunc_end39-_ZL24rocblas_symm_hemm_kernelILb0ELb0ELi32EPKdPKS1_PKPdEvbiiT2_T3_lllS8_lllT4_llli
                                        ; -- End function
	.set _ZL24rocblas_symm_hemm_kernelILb0ELb0ELi32EPKdPKS1_PKPdEvbiiT2_T3_lllS8_lllT4_llli.num_vgpr, 35
	.set _ZL24rocblas_symm_hemm_kernelILb0ELb0ELi32EPKdPKS1_PKPdEvbiiT2_T3_lllS8_lllT4_llli.num_agpr, 0
	.set _ZL24rocblas_symm_hemm_kernelILb0ELb0ELi32EPKdPKS1_PKPdEvbiiT2_T3_lllS8_lllT4_llli.numbered_sgpr, 44
	.set _ZL24rocblas_symm_hemm_kernelILb0ELb0ELi32EPKdPKS1_PKPdEvbiiT2_T3_lllS8_lllT4_llli.num_named_barrier, 0
	.set _ZL24rocblas_symm_hemm_kernelILb0ELb0ELi32EPKdPKS1_PKPdEvbiiT2_T3_lllS8_lllT4_llli.private_seg_size, 0
	.set _ZL24rocblas_symm_hemm_kernelILb0ELb0ELi32EPKdPKS1_PKPdEvbiiT2_T3_lllS8_lllT4_llli.uses_vcc, 1
	.set _ZL24rocblas_symm_hemm_kernelILb0ELb0ELi32EPKdPKS1_PKPdEvbiiT2_T3_lllS8_lllT4_llli.uses_flat_scratch, 0
	.set _ZL24rocblas_symm_hemm_kernelILb0ELb0ELi32EPKdPKS1_PKPdEvbiiT2_T3_lllS8_lllT4_llli.has_dyn_sized_stack, 0
	.set _ZL24rocblas_symm_hemm_kernelILb0ELb0ELi32EPKdPKS1_PKPdEvbiiT2_T3_lllS8_lllT4_llli.has_recursion, 0
	.set _ZL24rocblas_symm_hemm_kernelILb0ELb0ELi32EPKdPKS1_PKPdEvbiiT2_T3_lllS8_lllT4_llli.has_indirect_call, 0
	.section	.AMDGPU.csdata,"",@progbits
; Kernel info:
; codeLenInByte = 1692
; TotalNumSgprs: 46
; NumVgprs: 35
; ScratchSize: 0
; MemoryBound: 0
; FloatMode: 240
; IeeeMode: 1
; LDSByteSize: 16384 bytes/workgroup (compile time only)
; SGPRBlocks: 0
; VGPRBlocks: 4
; NumSGPRsForWavesPerEU: 46
; NumVGPRsForWavesPerEU: 35
; Occupancy: 16
; WaveLimiterHint : 1
; COMPUTE_PGM_RSRC2:SCRATCH_EN: 0
; COMPUTE_PGM_RSRC2:USER_SGPR: 2
; COMPUTE_PGM_RSRC2:TRAP_HANDLER: 0
; COMPUTE_PGM_RSRC2:TGID_X_EN: 1
; COMPUTE_PGM_RSRC2:TGID_Y_EN: 1
; COMPUTE_PGM_RSRC2:TGID_Z_EN: 1
; COMPUTE_PGM_RSRC2:TIDIG_COMP_CNT: 1
	.section	.text._ZL24rocblas_symm_hemm_kernelILb0ELb1ELi32EPKdPKS1_PKPdEvbiiT2_T3_lllS8_lllT4_llli,"axG",@progbits,_ZL24rocblas_symm_hemm_kernelILb0ELb1ELi32EPKdPKS1_PKPdEvbiiT2_T3_lllS8_lllT4_llli,comdat
	.globl	_ZL24rocblas_symm_hemm_kernelILb0ELb1ELi32EPKdPKS1_PKPdEvbiiT2_T3_lllS8_lllT4_llli ; -- Begin function _ZL24rocblas_symm_hemm_kernelILb0ELb1ELi32EPKdPKS1_PKPdEvbiiT2_T3_lllS8_lllT4_llli
	.p2align	8
	.type	_ZL24rocblas_symm_hemm_kernelILb0ELb1ELi32EPKdPKS1_PKPdEvbiiT2_T3_lllS8_lllT4_llli,@function
_ZL24rocblas_symm_hemm_kernelILb0ELb1ELi32EPKdPKS1_PKPdEvbiiT2_T3_lllS8_lllT4_llli: ; @_ZL24rocblas_symm_hemm_kernelILb0ELb1ELi32EPKdPKS1_PKPdEvbiiT2_T3_lllS8_lllT4_llli
; %bb.0:
	s_load_b256 s[4:11], s[0:1], 0x10
	s_wait_kmcnt 0x0
	s_load_b64 s[4:5], s[4:5], 0x0
	s_wait_kmcnt 0x0
	v_cmp_eq_f64_e64 s2, s[4:5], 0
	s_and_b32 vcc_lo, exec_lo, s2
	s_cbranch_vccnz .LBB40_16
; %bb.1:
	s_load_b32 s3, s[0:1], 0x78
	s_lshr_b32 s24, ttmp7, 16
	s_wait_kmcnt 0x0
	s_cmp_ge_u32 s24, s3
	s_cbranch_scc1 .LBB40_16
; %bb.2:
	s_clause 0x4
	s_load_b96 s[20:22], s[0:1], 0x0
	s_load_b128 s[12:15], s[0:1], 0x38
	s_load_b64 s[26:27], s[0:1], 0x68
	s_load_b64 s[28:29], s[0:1], 0x48
	s_load_b128 s[16:19], s[0:1], 0x58
	v_and_b32_e32 v9, 0x3ff, v0
	v_bfe_u32 v10, v0, 10, 10
	s_add_nc_u64 s[30:31], s[0:1], 0x80
	s_mov_b32 s25, 0
	s_delay_alu instid0(VALU_DEP_2) | instskip(NEXT) | instid1(VALU_DEP_2)
	v_lshl_add_u32 v2, ttmp9, 5, v9
	v_lshlrev_b32_e32 v0, 3, v10
	v_lshlrev_b32_e32 v11, 8, v9
	s_delay_alu instid0(VALU_DEP_3) | instskip(NEXT) | instid1(VALU_DEP_3)
	v_ashrrev_i32_e32 v3, 31, v2
	v_or_b32_e32 v12, 0x2000, v0
	s_delay_alu instid0(VALU_DEP_3) | instskip(NEXT) | instid1(VALU_DEP_3)
	v_add_nc_u32_e32 v13, v11, v0
	v_lshlrev_b64_e32 v[0:1], 3, v[2:3]
	s_delay_alu instid0(VALU_DEP_3)
	v_add_nc_u32_e32 v14, v12, v11
	s_wait_kmcnt 0x0
	s_bitcmp1_b32 s20, 0
	v_add_nc_u32_e32 v15, 0x800, v12
	s_cselect_b32 s0, -1, 0
	s_add_co_i32 s1, s22, -1
	s_wait_alu 0xfffe
	s_and_b32 s23, ttmp7, 0xffff
	s_ashr_i32 s2, s1, 31
	v_add_nc_u32_e32 v16, 0x1000, v12
	s_lshr_b32 s2, s2, 27
	v_add_nc_u32_e32 v17, 0x1800, v12
	s_add_co_i32 s1, s1, s2
	s_wait_alu 0xfffe
	s_ashr_i32 s33, s1, 5
	v_cmp_gt_i32_e64 s1, s21, v2
	s_cmp_le_i32 s23, s33
	s_cselect_b32 s34, -1, 0
	s_cmp_gt_i32 s22, 0
	s_cselect_b32 s35, -1, 0
	s_lshl_b64 s[8:9], s[8:9], 3
	s_lshl_b64 s[18:19], s[18:19], 3
	;; [unrolled: 1-line block ×3, first 2 shown]
	s_branch .LBB40_4
.LBB40_3:                               ;   in Loop: Header=BB40_4 Depth=1
	s_add_co_i32 s24, s24, 0x10000
	s_delay_alu instid0(SALU_CYCLE_1)
	s_cmp_lt_u32 s24, s3
	s_cbranch_scc0 .LBB40_16
.LBB40_4:                               ; =>This Loop Header: Depth=1
                                        ;     Child Loop BB40_7 Depth 2
                                        ;       Child Loop BB40_10 Depth 3
	s_and_not1_b32 vcc_lo, exec_lo, s34
	s_wait_alu 0xfffe
	s_cbranch_vccnz .LBB40_3
; %bb.5:                                ;   in Loop: Header=BB40_4 Depth=1
	s_lshl_b64 s[20:21], s[24:25], 3
	s_wait_alu 0xfffe
	s_add_nc_u64 s[36:37], s[16:17], s[20:21]
	s_add_nc_u64 s[38:39], s[12:13], s[20:21]
	s_load_b64 s[40:41], s[36:37], 0x0
	s_load_b64 s[38:39], s[38:39], 0x0
	s_add_nc_u64 s[20:21], s[6:7], s[20:21]
	s_load_b64 s[20:21], s[20:21], 0x0
	s_load_b32 s36, s[30:31], 0x4
	s_mov_b32 s37, s23
	s_wait_kmcnt 0x0
	s_add_nc_u64 s[40:41], s[40:41], s[18:19]
	s_add_nc_u64 s[38:39], s[38:39], s[14:15]
	;; [unrolled: 1-line block ×3, first 2 shown]
	s_wait_alu 0xfffe
	v_add_co_u32 v18, vcc_lo, s38, v0
	s_wait_alu 0xfffd
	v_add_co_ci_u32_e64 v19, null, s39, v1, vcc_lo
	v_add_co_u32 v20, vcc_lo, s40, v0
	s_wait_alu 0xfffd
	v_add_co_ci_u32_e64 v21, null, s41, v1, vcc_lo
	s_branch .LBB40_7
.LBB40_6:                               ;   in Loop: Header=BB40_7 Depth=2
	s_add_co_i32 s37, s37, s36
	s_wait_alu 0xfffe
	s_cmp_gt_i32 s37, s33
	s_cbranch_scc1 .LBB40_3
.LBB40_7:                               ;   Parent Loop BB40_4 Depth=1
                                        ; =>  This Loop Header: Depth=2
                                        ;       Child Loop BB40_10 Depth 3
	s_and_not1_b32 vcc_lo, exec_lo, s35
	s_wait_alu 0xfffe
	s_cbranch_vccnz .LBB40_6
; %bb.8:                                ;   in Loop: Header=BB40_7 Depth=2
	v_lshl_add_u32 v22, s37, 5, v10
	s_mov_b32 s38, 0
	s_delay_alu instid0(VALU_DEP_1) | instskip(SKIP_3) | instid1(VALU_DEP_4)
	v_ashrrev_i32_e32 v4, 31, v22
	v_mul_lo_u32 v5, s27, v22
	v_mad_co_u64_u32 v[2:3], null, s26, v22, 0
	v_cmp_gt_i32_e32 vcc_lo, s22, v22
	v_mul_lo_u32 v4, s26, v4
	s_delay_alu instid0(VALU_DEP_1) | instskip(NEXT) | instid1(VALU_DEP_1)
	v_add3_u32 v3, v3, v4, v5
	v_lshlrev_b64_e32 v[2:3], 3, v[2:3]
	s_delay_alu instid0(VALU_DEP_1) | instskip(SKIP_1) | instid1(VALU_DEP_2)
	v_add_co_u32 v2, s2, v20, v2
	s_wait_alu 0xf1ff
	v_add_co_ci_u32_e64 v3, null, v21, v3, s2
	s_and_b32 s2, s1, vcc_lo
	s_branch .LBB40_10
.LBB40_9:                               ;   in Loop: Header=BB40_10 Depth=3
	s_wait_alu 0xfffe
	s_or_b32 exec_lo, exec_lo, s39
	s_add_co_i32 s38, s38, 32
	s_wait_storecnt 0x0
	s_wait_loadcnt_dscnt 0x0
	s_wait_alu 0xfffe
	s_cmp_ge_i32 s38, s22
	s_barrier_signal -1
	s_barrier_wait -1
	global_inv scope:SCOPE_SE
	s_cbranch_scc1 .LBB40_6
.LBB40_10:                              ;   Parent Loop BB40_4 Depth=1
                                        ;     Parent Loop BB40_7 Depth=2
                                        ; =>    This Inner Loop Header: Depth=3
	s_wait_alu 0xfffe
	v_add_nc_u32_e32 v6, s38, v10
	v_dual_mov_b32 v4, 0 :: v_dual_mov_b32 v7, 0
	v_dual_mov_b32 v5, 0 :: v_dual_mov_b32 v8, 0
	s_delay_alu instid0(VALU_DEP_3)
	v_cmp_gt_i32_e32 vcc_lo, s22, v6
	s_and_b32 s40, s1, vcc_lo
	s_wait_alu 0xfffe
	s_and_saveexec_b32 s39, s40
	s_cbranch_execz .LBB40_12
; %bb.11:                               ;   in Loop: Header=BB40_10 Depth=3
	v_ashrrev_i32_e32 v8, 31, v6
	v_mul_lo_u32 v23, s29, v6
	v_mad_co_u64_u32 v[6:7], null, s28, v6, 0
	s_delay_alu instid0(VALU_DEP_3) | instskip(NEXT) | instid1(VALU_DEP_1)
	v_mul_lo_u32 v8, s28, v8
	v_add3_u32 v7, v7, v8, v23
	s_delay_alu instid0(VALU_DEP_1) | instskip(NEXT) | instid1(VALU_DEP_1)
	v_lshlrev_b64_e32 v[6:7], 3, v[6:7]
	v_add_co_u32 v6, vcc_lo, v18, v6
	s_wait_alu 0xfffd
	s_delay_alu instid0(VALU_DEP_2)
	v_add_co_ci_u32_e64 v7, null, v19, v7, vcc_lo
	flat_load_b64 v[7:8], v[6:7]
.LBB40_12:                              ;   in Loop: Header=BB40_10 Depth=3
	s_wait_alu 0xfffe
	s_or_b32 exec_lo, exec_lo, s39
	v_add_nc_u32_e32 v23, s38, v9
	s_mov_b32 s39, exec_lo
	s_wait_loadcnt_dscnt 0x0
	ds_store_b64 v13, v[7:8]
	v_cndmask_b32_e64 v6, v22, v23, s0
	v_cndmask_b32_e64 v24, v23, v22, s0
	s_delay_alu instid0(VALU_DEP_1) | instskip(SKIP_2) | instid1(VALU_DEP_1)
	v_cmp_gt_i32_e32 vcc_lo, v6, v24
	s_wait_alu 0xfffd
	v_dual_cndmask_b32 v6, v23, v22 :: v_dual_cndmask_b32 v23, v22, v23
	v_max_i32_e32 v24, v6, v23
	s_delay_alu instid0(VALU_DEP_1)
	v_cmpx_gt_i32_e64 s22, v24
	s_cbranch_execz .LBB40_14
; %bb.13:                               ;   in Loop: Header=BB40_10 Depth=3
	v_ashrrev_i32_e32 v7, 31, v23
	v_mul_lo_u32 v8, s11, v23
	v_mad_co_u64_u32 v[4:5], null, s10, v23, 0
	s_delay_alu instid0(VALU_DEP_3) | instskip(NEXT) | instid1(VALU_DEP_1)
	v_mul_lo_u32 v7, s10, v7
	v_add3_u32 v5, v5, v7, v8
	v_ashrrev_i32_e32 v7, 31, v6
	s_delay_alu instid0(VALU_DEP_2) | instskip(NEXT) | instid1(VALU_DEP_2)
	v_lshlrev_b64_e32 v[4:5], 3, v[4:5]
	v_lshlrev_b64_e32 v[6:7], 3, v[6:7]
	s_delay_alu instid0(VALU_DEP_2) | instskip(SKIP_1) | instid1(VALU_DEP_3)
	v_add_co_u32 v4, vcc_lo, s20, v4
	s_wait_alu 0xfffd
	v_add_co_ci_u32_e64 v5, null, s21, v5, vcc_lo
	s_delay_alu instid0(VALU_DEP_2) | instskip(SKIP_1) | instid1(VALU_DEP_2)
	v_add_co_u32 v4, vcc_lo, v4, v6
	s_wait_alu 0xfffd
	v_add_co_ci_u32_e64 v5, null, v5, v7, vcc_lo
	flat_load_b64 v[4:5], v[4:5]
.LBB40_14:                              ;   in Loop: Header=BB40_10 Depth=3
	s_wait_alu 0xfffe
	s_or_b32 exec_lo, exec_lo, s39
	s_wait_loadcnt_dscnt 0x0
	ds_store_b64 v14, v[4:5]
	s_wait_dscnt 0x0
	s_barrier_signal -1
	s_barrier_wait -1
	global_inv scope:SCOPE_SE
	s_and_saveexec_b32 s39, s2
	s_cbranch_execz .LBB40_9
; %bb.15:                               ;   in Loop: Header=BB40_10 Depth=3
	ds_load_2addr_b64 v[4:7], v12 offset1:32
	ds_load_b128 v[23:26], v11
	ds_load_b128 v[27:30], v11 offset:16
	s_wait_dscnt 0x1
	v_fma_f64 v[4:5], v[23:24], v[4:5], 0
	s_delay_alu instid0(VALU_DEP_1) | instskip(SKIP_3) | instid1(VALU_DEP_1)
	v_fma_f64 v[23:24], v[25:26], v[6:7], v[4:5]
	ds_load_2addr_b64 v[4:7], v12 offset0:64 offset1:96
	s_wait_dscnt 0x0
	v_fma_f64 v[4:5], v[27:28], v[4:5], v[23:24]
	v_fma_f64 v[31:32], v[29:30], v[6:7], v[4:5]
	ds_load_2addr_b64 v[4:7], v12 offset0:128 offset1:160
	ds_load_b128 v[23:26], v11 offset:32
	ds_load_b128 v[27:30], v11 offset:48
	s_wait_dscnt 0x1
	v_fma_f64 v[4:5], v[23:24], v[4:5], v[31:32]
	s_delay_alu instid0(VALU_DEP_1) | instskip(SKIP_3) | instid1(VALU_DEP_1)
	v_fma_f64 v[23:24], v[25:26], v[6:7], v[4:5]
	ds_load_2addr_b64 v[4:7], v12 offset0:192 offset1:224
	s_wait_dscnt 0x0
	v_fma_f64 v[4:5], v[27:28], v[4:5], v[23:24]
	v_fma_f64 v[31:32], v[29:30], v[6:7], v[4:5]
	ds_load_2addr_b64 v[4:7], v15 offset1:32
	ds_load_b128 v[23:26], v11 offset:64
	ds_load_b128 v[27:30], v11 offset:80
	s_wait_dscnt 0x1
	v_fma_f64 v[4:5], v[23:24], v[4:5], v[31:32]
	s_delay_alu instid0(VALU_DEP_1) | instskip(SKIP_3) | instid1(VALU_DEP_1)
	v_fma_f64 v[23:24], v[25:26], v[6:7], v[4:5]
	ds_load_2addr_b64 v[4:7], v15 offset0:64 offset1:96
	s_wait_dscnt 0x0
	v_fma_f64 v[4:5], v[27:28], v[4:5], v[23:24]
	v_fma_f64 v[31:32], v[29:30], v[6:7], v[4:5]
	ds_load_2addr_b64 v[4:7], v15 offset0:128 offset1:160
	ds_load_b128 v[23:26], v11 offset:96
	ds_load_b128 v[27:30], v11 offset:112
	s_wait_dscnt 0x1
	v_fma_f64 v[4:5], v[23:24], v[4:5], v[31:32]
	s_delay_alu instid0(VALU_DEP_1) | instskip(SKIP_3) | instid1(VALU_DEP_1)
	v_fma_f64 v[23:24], v[25:26], v[6:7], v[4:5]
	ds_load_2addr_b64 v[4:7], v15 offset0:192 offset1:224
	s_wait_dscnt 0x0
	v_fma_f64 v[4:5], v[27:28], v[4:5], v[23:24]
	v_fma_f64 v[31:32], v[29:30], v[6:7], v[4:5]
	ds_load_2addr_b64 v[4:7], v16 offset1:32
	ds_load_b128 v[23:26], v11 offset:128
	ds_load_b128 v[27:30], v11 offset:144
	s_wait_dscnt 0x1
	v_fma_f64 v[4:5], v[23:24], v[4:5], v[31:32]
	s_delay_alu instid0(VALU_DEP_1) | instskip(SKIP_3) | instid1(VALU_DEP_1)
	v_fma_f64 v[23:24], v[25:26], v[6:7], v[4:5]
	ds_load_2addr_b64 v[4:7], v16 offset0:64 offset1:96
	s_wait_dscnt 0x0
	v_fma_f64 v[4:5], v[27:28], v[4:5], v[23:24]
	v_fma_f64 v[31:32], v[29:30], v[6:7], v[4:5]
	ds_load_2addr_b64 v[4:7], v16 offset0:128 offset1:160
	ds_load_b128 v[23:26], v11 offset:160
	ds_load_b128 v[27:30], v11 offset:176
	s_wait_dscnt 0x1
	v_fma_f64 v[4:5], v[23:24], v[4:5], v[31:32]
	s_delay_alu instid0(VALU_DEP_1) | instskip(SKIP_3) | instid1(VALU_DEP_1)
	v_fma_f64 v[23:24], v[25:26], v[6:7], v[4:5]
	ds_load_2addr_b64 v[4:7], v16 offset0:192 offset1:224
	s_wait_dscnt 0x0
	v_fma_f64 v[4:5], v[27:28], v[4:5], v[23:24]
	v_fma_f64 v[31:32], v[29:30], v[6:7], v[4:5]
	ds_load_b128 v[4:7], v11 offset:192
	ds_load_2addr_b64 v[23:26], v17 offset1:32
	flat_load_b64 v[33:34], v[2:3]
	ds_load_b128 v[27:30], v11 offset:208
	s_wait_dscnt 0x2
	v_fma_f64 v[4:5], v[4:5], v[23:24], v[31:32]
	s_delay_alu instid0(VALU_DEP_1) | instskip(SKIP_3) | instid1(VALU_DEP_1)
	v_fma_f64 v[23:24], v[6:7], v[25:26], v[4:5]
	ds_load_2addr_b64 v[4:7], v17 offset0:64 offset1:96
	s_wait_dscnt 0x0
	v_fma_f64 v[4:5], v[27:28], v[4:5], v[23:24]
	v_fma_f64 v[31:32], v[29:30], v[6:7], v[4:5]
	ds_load_2addr_b64 v[4:7], v17 offset0:128 offset1:160
	ds_load_b128 v[23:26], v11 offset:224
	ds_load_b128 v[27:30], v11 offset:240
	s_wait_dscnt 0x1
	v_fma_f64 v[4:5], v[23:24], v[4:5], v[31:32]
	s_delay_alu instid0(VALU_DEP_1) | instskip(SKIP_3) | instid1(VALU_DEP_1)
	v_fma_f64 v[23:24], v[25:26], v[6:7], v[4:5]
	ds_load_2addr_b64 v[4:7], v17 offset0:192 offset1:224
	s_wait_dscnt 0x0
	v_fma_f64 v[4:5], v[27:28], v[4:5], v[23:24]
	v_fma_f64 v[4:5], v[29:30], v[6:7], v[4:5]
	s_wait_loadcnt 0x0
	s_delay_alu instid0(VALU_DEP_1)
	v_fma_f64 v[4:5], s[4:5], v[4:5], v[33:34]
	flat_store_b64 v[2:3], v[4:5]
	s_branch .LBB40_9
.LBB40_16:
	s_endpgm
	.section	.rodata,"a",@progbits
	.p2align	6, 0x0
	.amdhsa_kernel _ZL24rocblas_symm_hemm_kernelILb0ELb1ELi32EPKdPKS1_PKPdEvbiiT2_T3_lllS8_lllT4_llli
		.amdhsa_group_segment_fixed_size 16384
		.amdhsa_private_segment_fixed_size 0
		.amdhsa_kernarg_size 384
		.amdhsa_user_sgpr_count 2
		.amdhsa_user_sgpr_dispatch_ptr 0
		.amdhsa_user_sgpr_queue_ptr 0
		.amdhsa_user_sgpr_kernarg_segment_ptr 1
		.amdhsa_user_sgpr_dispatch_id 0
		.amdhsa_user_sgpr_private_segment_size 0
		.amdhsa_wavefront_size32 1
		.amdhsa_uses_dynamic_stack 0
		.amdhsa_enable_private_segment 0
		.amdhsa_system_sgpr_workgroup_id_x 1
		.amdhsa_system_sgpr_workgroup_id_y 1
		.amdhsa_system_sgpr_workgroup_id_z 1
		.amdhsa_system_sgpr_workgroup_info 0
		.amdhsa_system_vgpr_workitem_id 1
		.amdhsa_next_free_vgpr 35
		.amdhsa_next_free_sgpr 42
		.amdhsa_reserve_vcc 1
		.amdhsa_float_round_mode_32 0
		.amdhsa_float_round_mode_16_64 0
		.amdhsa_float_denorm_mode_32 3
		.amdhsa_float_denorm_mode_16_64 3
		.amdhsa_fp16_overflow 0
		.amdhsa_workgroup_processor_mode 1
		.amdhsa_memory_ordered 1
		.amdhsa_forward_progress 1
		.amdhsa_inst_pref_size 14
		.amdhsa_round_robin_scheduling 0
		.amdhsa_exception_fp_ieee_invalid_op 0
		.amdhsa_exception_fp_denorm_src 0
		.amdhsa_exception_fp_ieee_div_zero 0
		.amdhsa_exception_fp_ieee_overflow 0
		.amdhsa_exception_fp_ieee_underflow 0
		.amdhsa_exception_fp_ieee_inexact 0
		.amdhsa_exception_int_div_zero 0
	.end_amdhsa_kernel
	.section	.text._ZL24rocblas_symm_hemm_kernelILb0ELb1ELi32EPKdPKS1_PKPdEvbiiT2_T3_lllS8_lllT4_llli,"axG",@progbits,_ZL24rocblas_symm_hemm_kernelILb0ELb1ELi32EPKdPKS1_PKPdEvbiiT2_T3_lllS8_lllT4_llli,comdat
.Lfunc_end40:
	.size	_ZL24rocblas_symm_hemm_kernelILb0ELb1ELi32EPKdPKS1_PKPdEvbiiT2_T3_lllS8_lllT4_llli, .Lfunc_end40-_ZL24rocblas_symm_hemm_kernelILb0ELb1ELi32EPKdPKS1_PKPdEvbiiT2_T3_lllS8_lllT4_llli
                                        ; -- End function
	.set _ZL24rocblas_symm_hemm_kernelILb0ELb1ELi32EPKdPKS1_PKPdEvbiiT2_T3_lllS8_lllT4_llli.num_vgpr, 35
	.set _ZL24rocblas_symm_hemm_kernelILb0ELb1ELi32EPKdPKS1_PKPdEvbiiT2_T3_lllS8_lllT4_llli.num_agpr, 0
	.set _ZL24rocblas_symm_hemm_kernelILb0ELb1ELi32EPKdPKS1_PKPdEvbiiT2_T3_lllS8_lllT4_llli.numbered_sgpr, 42
	.set _ZL24rocblas_symm_hemm_kernelILb0ELb1ELi32EPKdPKS1_PKPdEvbiiT2_T3_lllS8_lllT4_llli.num_named_barrier, 0
	.set _ZL24rocblas_symm_hemm_kernelILb0ELb1ELi32EPKdPKS1_PKPdEvbiiT2_T3_lllS8_lllT4_llli.private_seg_size, 0
	.set _ZL24rocblas_symm_hemm_kernelILb0ELb1ELi32EPKdPKS1_PKPdEvbiiT2_T3_lllS8_lllT4_llli.uses_vcc, 1
	.set _ZL24rocblas_symm_hemm_kernelILb0ELb1ELi32EPKdPKS1_PKPdEvbiiT2_T3_lllS8_lllT4_llli.uses_flat_scratch, 0
	.set _ZL24rocblas_symm_hemm_kernelILb0ELb1ELi32EPKdPKS1_PKPdEvbiiT2_T3_lllS8_lllT4_llli.has_dyn_sized_stack, 0
	.set _ZL24rocblas_symm_hemm_kernelILb0ELb1ELi32EPKdPKS1_PKPdEvbiiT2_T3_lllS8_lllT4_llli.has_recursion, 0
	.set _ZL24rocblas_symm_hemm_kernelILb0ELb1ELi32EPKdPKS1_PKPdEvbiiT2_T3_lllS8_lllT4_llli.has_indirect_call, 0
	.section	.AMDGPU.csdata,"",@progbits
; Kernel info:
; codeLenInByte = 1672
; TotalNumSgprs: 44
; NumVgprs: 35
; ScratchSize: 0
; MemoryBound: 0
; FloatMode: 240
; IeeeMode: 1
; LDSByteSize: 16384 bytes/workgroup (compile time only)
; SGPRBlocks: 0
; VGPRBlocks: 4
; NumSGPRsForWavesPerEU: 44
; NumVGPRsForWavesPerEU: 35
; Occupancy: 16
; WaveLimiterHint : 1
; COMPUTE_PGM_RSRC2:SCRATCH_EN: 0
; COMPUTE_PGM_RSRC2:USER_SGPR: 2
; COMPUTE_PGM_RSRC2:TRAP_HANDLER: 0
; COMPUTE_PGM_RSRC2:TGID_X_EN: 1
; COMPUTE_PGM_RSRC2:TGID_Y_EN: 1
; COMPUTE_PGM_RSRC2:TGID_Z_EN: 1
; COMPUTE_PGM_RSRC2:TIDIG_COMP_CNT: 1
	.section	.text._ZL25rocblas_symm_scale_kernelILi128ELi8EdPKPdEviiT1_T2_llli,"axG",@progbits,_ZL25rocblas_symm_scale_kernelILi128ELi8EdPKPdEviiT1_T2_llli,comdat
	.globl	_ZL25rocblas_symm_scale_kernelILi128ELi8EdPKPdEviiT1_T2_llli ; -- Begin function _ZL25rocblas_symm_scale_kernelILi128ELi8EdPKPdEviiT1_T2_llli
	.p2align	8
	.type	_ZL25rocblas_symm_scale_kernelILi128ELi8EdPKPdEviiT1_T2_llli,@function
_ZL25rocblas_symm_scale_kernelILi128ELi8EdPKPdEviiT1_T2_llli: ; @_ZL25rocblas_symm_scale_kernelILi128ELi8EdPKPdEviiT1_T2_llli
; %bb.0:
	s_load_b256 s[4:11], s[0:1], 0x8
	s_wait_kmcnt 0x0
	v_cmp_eq_f64_e64 s2, s[4:5], 1.0
	s_and_b32 vcc_lo, exec_lo, s2
	s_cbranch_vccnz .LBB41_10
; %bb.1:
	s_load_b32 s18, s[0:1], 0x30
	s_lshr_b32 s12, ttmp7, 16
	s_wait_kmcnt 0x0
	s_cmp_ge_u32 s12, s18
	s_cbranch_scc1 .LBB41_10
; %bb.2:
	v_bfe_u32 v1, v0, 10, 10
	s_and_b32 s2, ttmp7, 0xffff
	v_cmp_neq_f64_e64 s20, s[4:5], 0
	v_and_b32_e32 v0, 0x3ff, v0
	s_lshl_b64 s[14:15], s[8:9], 3
	v_lshl_add_u32 v1, s2, 3, v1
	s_load_b64 s[2:3], s[0:1], 0x0
	s_delay_alu instid0(VALU_DEP_1) | instskip(NEXT) | instid1(VALU_DEP_1)
	v_mad_co_u64_u32 v[3:4], null, s10, v1, 0
	v_mov_b32_e32 v2, v4
	s_delay_alu instid0(VALU_DEP_1)
	v_mad_co_u64_u32 v[4:5], null, s11, v1, v[2:3]
	v_mov_b32_e32 v2, 0
	v_lshl_add_u32 v5, ttmp9, 7, v0
	s_wait_kmcnt 0x0
	s_ashr_i32 s9, s3, 31
	s_mov_b32 s8, s3
	s_lshl_b64 s[10:11], s[10:11], 3
	v_mov_b32_e32 v6, v2
	v_lshlrev_b64_e32 v[3:4], 3, v[3:4]
	v_cmp_gt_i64_e32 vcc_lo, s[8:9], v[1:2]
	v_cmp_gt_u32_e64 s2, s2, v5
	s_delay_alu instid0(VALU_DEP_4) | instskip(NEXT) | instid1(VALU_DEP_4)
	v_lshlrev_b64_e32 v[6:7], 3, v[5:6]
	v_add_co_u32 v0, s3, v3, s14
	s_wait_alu 0xf1ff
	v_add_co_ci_u32_e64 v3, null, s15, v4, s3
	s_and_b32 s19, s2, vcc_lo
	v_add_co_u32 v0, vcc_lo, v0, v6
	s_delay_alu instid0(VALU_DEP_1)
	v_add_co_ci_u32_e64 v9, null, v3, v7, vcc_lo
	s_add_nc_u64 s[2:3], s[0:1], 56
	s_mov_b32 s15, 0
	s_branch .LBB41_4
.LBB41_3:                               ;   in Loop: Header=BB41_4 Depth=1
	s_wait_alu 0xfffe
	s_or_b32 exec_lo, exec_lo, s1
	s_add_co_i32 s12, s12, 0x10000
	s_delay_alu instid0(SALU_CYCLE_1)
	s_cmp_lt_u32 s12, s18
	s_cbranch_scc0 .LBB41_10
.LBB41_4:                               ; =>This Loop Header: Depth=1
                                        ;     Child Loop BB41_8 Depth 2
	s_and_saveexec_b32 s1, s19
	s_cbranch_execz .LBB41_3
; %bb.5:                                ;   in Loop: Header=BB41_4 Depth=1
	s_wait_alu 0xfffe
	s_mov_b32 s13, s15
	s_load_b32 s0, s[2:3], 0x4
	s_lshl_b64 s[16:17], s[12:13], 3
	v_dual_mov_b32 v6, v2 :: v_dual_mov_b32 v5, v1
	s_wait_alu 0xfffe
	s_add_nc_u64 s[16:17], s[6:7], s[16:17]
	s_mov_b32 s13, 0
	s_load_b64 s[16:17], s[16:17], 0x0
	s_wait_kmcnt 0x0
	s_lshl_b32 s14, s0, 3
	v_add_co_u32 v3, vcc_lo, s16, v0
	s_wait_alu 0xfffd
	v_add_co_ci_u32_e64 v4, null, s17, v9, vcc_lo
	s_wait_alu 0xfffe
	s_mul_u64 s[16:17], s[10:11], s[14:15]
	s_branch .LBB41_8
.LBB41_6:                               ;   in Loop: Header=BB41_8 Depth=2
	flat_load_b64 v[7:8], v[3:4]
	s_wait_loadcnt_dscnt 0x0
	v_mul_f64_e32 v[7:8], s[4:5], v[7:8]
.LBB41_7:                               ;   in Loop: Header=BB41_8 Depth=2
	v_add_co_u32 v5, vcc_lo, v5, s14
	s_wait_alu 0xfffd
	v_add_co_ci_u32_e64 v6, null, 0, v6, vcc_lo
	flat_store_b64 v[3:4], v[7:8]
	v_add_co_u32 v3, s0, v3, s16
	v_cmp_le_i64_e32 vcc_lo, s[8:9], v[5:6]
	s_wait_alu 0xf1ff
	v_add_co_ci_u32_e64 v4, null, s17, v4, s0
	s_or_b32 s13, vcc_lo, s13
	s_delay_alu instid0(SALU_CYCLE_1)
	s_and_not1_b32 exec_lo, exec_lo, s13
	s_cbranch_execz .LBB41_3
.LBB41_8:                               ;   Parent Loop BB41_4 Depth=1
                                        ; =>  This Inner Loop Header: Depth=2
	s_and_not1_b32 vcc_lo, exec_lo, s20
	s_wait_alu 0xfffe
	s_cbranch_vccz .LBB41_6
; %bb.9:                                ;   in Loop: Header=BB41_8 Depth=2
	v_mov_b32_e32 v7, 0
	v_mov_b32_e32 v8, 0
	s_branch .LBB41_7
.LBB41_10:
	s_endpgm
	.section	.rodata,"a",@progbits
	.p2align	6, 0x0
	.amdhsa_kernel _ZL25rocblas_symm_scale_kernelILi128ELi8EdPKPdEviiT1_T2_llli
		.amdhsa_group_segment_fixed_size 0
		.amdhsa_private_segment_fixed_size 0
		.amdhsa_kernarg_size 312
		.amdhsa_user_sgpr_count 2
		.amdhsa_user_sgpr_dispatch_ptr 0
		.amdhsa_user_sgpr_queue_ptr 0
		.amdhsa_user_sgpr_kernarg_segment_ptr 1
		.amdhsa_user_sgpr_dispatch_id 0
		.amdhsa_user_sgpr_private_segment_size 0
		.amdhsa_wavefront_size32 1
		.amdhsa_uses_dynamic_stack 0
		.amdhsa_enable_private_segment 0
		.amdhsa_system_sgpr_workgroup_id_x 1
		.amdhsa_system_sgpr_workgroup_id_y 1
		.amdhsa_system_sgpr_workgroup_id_z 1
		.amdhsa_system_sgpr_workgroup_info 0
		.amdhsa_system_vgpr_workitem_id 1
		.amdhsa_next_free_vgpr 10
		.amdhsa_next_free_sgpr 21
		.amdhsa_reserve_vcc 1
		.amdhsa_float_round_mode_32 0
		.amdhsa_float_round_mode_16_64 0
		.amdhsa_float_denorm_mode_32 3
		.amdhsa_float_denorm_mode_16_64 3
		.amdhsa_fp16_overflow 0
		.amdhsa_workgroup_processor_mode 1
		.amdhsa_memory_ordered 1
		.amdhsa_forward_progress 1
		.amdhsa_inst_pref_size 4
		.amdhsa_round_robin_scheduling 0
		.amdhsa_exception_fp_ieee_invalid_op 0
		.amdhsa_exception_fp_denorm_src 0
		.amdhsa_exception_fp_ieee_div_zero 0
		.amdhsa_exception_fp_ieee_overflow 0
		.amdhsa_exception_fp_ieee_underflow 0
		.amdhsa_exception_fp_ieee_inexact 0
		.amdhsa_exception_int_div_zero 0
	.end_amdhsa_kernel
	.section	.text._ZL25rocblas_symm_scale_kernelILi128ELi8EdPKPdEviiT1_T2_llli,"axG",@progbits,_ZL25rocblas_symm_scale_kernelILi128ELi8EdPKPdEviiT1_T2_llli,comdat
.Lfunc_end41:
	.size	_ZL25rocblas_symm_scale_kernelILi128ELi8EdPKPdEviiT1_T2_llli, .Lfunc_end41-_ZL25rocblas_symm_scale_kernelILi128ELi8EdPKPdEviiT1_T2_llli
                                        ; -- End function
	.set _ZL25rocblas_symm_scale_kernelILi128ELi8EdPKPdEviiT1_T2_llli.num_vgpr, 10
	.set _ZL25rocblas_symm_scale_kernelILi128ELi8EdPKPdEviiT1_T2_llli.num_agpr, 0
	.set _ZL25rocblas_symm_scale_kernelILi128ELi8EdPKPdEviiT1_T2_llli.numbered_sgpr, 21
	.set _ZL25rocblas_symm_scale_kernelILi128ELi8EdPKPdEviiT1_T2_llli.num_named_barrier, 0
	.set _ZL25rocblas_symm_scale_kernelILi128ELi8EdPKPdEviiT1_T2_llli.private_seg_size, 0
	.set _ZL25rocblas_symm_scale_kernelILi128ELi8EdPKPdEviiT1_T2_llli.uses_vcc, 1
	.set _ZL25rocblas_symm_scale_kernelILi128ELi8EdPKPdEviiT1_T2_llli.uses_flat_scratch, 0
	.set _ZL25rocblas_symm_scale_kernelILi128ELi8EdPKPdEviiT1_T2_llli.has_dyn_sized_stack, 0
	.set _ZL25rocblas_symm_scale_kernelILi128ELi8EdPKPdEviiT1_T2_llli.has_recursion, 0
	.set _ZL25rocblas_symm_scale_kernelILi128ELi8EdPKPdEviiT1_T2_llli.has_indirect_call, 0
	.section	.AMDGPU.csdata,"",@progbits
; Kernel info:
; codeLenInByte = 488
; TotalNumSgprs: 23
; NumVgprs: 10
; ScratchSize: 0
; MemoryBound: 1
; FloatMode: 240
; IeeeMode: 1
; LDSByteSize: 0 bytes/workgroup (compile time only)
; SGPRBlocks: 0
; VGPRBlocks: 1
; NumSGPRsForWavesPerEU: 23
; NumVGPRsForWavesPerEU: 10
; Occupancy: 16
; WaveLimiterHint : 0
; COMPUTE_PGM_RSRC2:SCRATCH_EN: 0
; COMPUTE_PGM_RSRC2:USER_SGPR: 2
; COMPUTE_PGM_RSRC2:TRAP_HANDLER: 0
; COMPUTE_PGM_RSRC2:TGID_X_EN: 1
; COMPUTE_PGM_RSRC2:TGID_Y_EN: 1
; COMPUTE_PGM_RSRC2:TGID_Z_EN: 1
; COMPUTE_PGM_RSRC2:TIDIG_COMP_CNT: 1
	.section	.text._ZL24rocblas_symm_hemm_kernelILb0ELb0ELi32EdPKPKdPKPdEvbiiT2_T3_lllS8_lllT4_llli,"axG",@progbits,_ZL24rocblas_symm_hemm_kernelILb0ELb0ELi32EdPKPKdPKPdEvbiiT2_T3_lllS8_lllT4_llli,comdat
	.globl	_ZL24rocblas_symm_hemm_kernelILb0ELb0ELi32EdPKPKdPKPdEvbiiT2_T3_lllS8_lllT4_llli ; -- Begin function _ZL24rocblas_symm_hemm_kernelILb0ELb0ELi32EdPKPKdPKPdEvbiiT2_T3_lllS8_lllT4_llli
	.p2align	8
	.type	_ZL24rocblas_symm_hemm_kernelILb0ELb0ELi32EdPKPKdPKPdEvbiiT2_T3_lllS8_lllT4_llli,@function
_ZL24rocblas_symm_hemm_kernelILb0ELb0ELi32EdPKPKdPKPdEvbiiT2_T3_lllS8_lllT4_llli: ; @_ZL24rocblas_symm_hemm_kernelILb0ELb0ELi32EdPKPKdPKPdEvbiiT2_T3_lllS8_lllT4_llli
; %bb.0:
	s_load_b256 s[4:11], s[0:1], 0x10
	s_wait_kmcnt 0x0
	v_cmp_eq_f64_e64 s2, s[4:5], 0
	s_and_b32 vcc_lo, exec_lo, s2
	s_cbranch_vccnz .LBB42_16
; %bb.1:
	s_load_b32 s3, s[0:1], 0x78
	s_lshr_b32 s24, ttmp7, 16
	s_wait_kmcnt 0x0
	s_cmp_ge_u32 s24, s3
	s_cbranch_scc1 .LBB42_16
; %bb.2:
	s_clause 0x4
	s_load_b96 s[20:22], s[0:1], 0x0
	s_load_b128 s[12:15], s[0:1], 0x38
	s_load_b64 s[26:27], s[0:1], 0x68
	s_load_b64 s[28:29], s[0:1], 0x48
	s_load_b128 s[16:19], s[0:1], 0x58
	v_and_b32_e32 v10, 0x3ff, v0
	v_bfe_u32 v11, v0, 10, 10
	s_add_nc_u64 s[30:31], s[0:1], 0x80
	s_mov_b32 s25, 0
	s_delay_alu instid0(VALU_DEP_2) | instskip(NEXT) | instid1(VALU_DEP_2)
	v_lshlrev_b32_e32 v12, 8, v10
	v_lshlrev_b32_e32 v1, 3, v11
	v_lshl_add_u32 v0, ttmp9, 5, v10
	s_delay_alu instid0(VALU_DEP_2) | instskip(SKIP_1) | instid1(VALU_DEP_3)
	v_add_nc_u32_e32 v13, v12, v1
	v_or_b32_e32 v14, 0x2000, v1
	v_ashrrev_i32_e32 v1, 31, v0
	s_delay_alu instid0(VALU_DEP_2) | instskip(SKIP_2) | instid1(VALU_DEP_2)
	v_add_nc_u32_e32 v15, v14, v12
	s_wait_kmcnt 0x0
	s_bitcmp1_b32 s20, 0
	v_lshlrev_b64_e32 v[1:2], 3, v[0:1]
	s_cselect_b32 s0, -1, 0
	s_add_co_i32 s1, s22, -1
	s_wait_alu 0xfffe
	s_and_b32 s20, ttmp7, 0xffff
	s_ashr_i32 s2, s1, 31
	v_add_nc_u32_e32 v16, 0x800, v14
	s_lshr_b32 s2, s2, 27
	v_add_nc_u32_e32 v17, 0x1000, v14
	s_add_co_i32 s1, s1, s2
	v_add_nc_u32_e32 v18, 0x1800, v14
	s_wait_alu 0xfffe
	s_ashr_i32 s23, s1, 5
	v_cmp_gt_i32_e64 s1, s21, v0
	s_cmp_le_i32 s20, s23
	s_cselect_b32 s33, -1, 0
	s_cmp_gt_i32 s21, 0
	s_cselect_b32 s38, -1, 0
	s_lshl_b64 s[8:9], s[8:9], 3
	s_lshl_b64 s[14:15], s[14:15], 3
	;; [unrolled: 1-line block ×3, first 2 shown]
	s_branch .LBB42_4
.LBB42_3:                               ;   in Loop: Header=BB42_4 Depth=1
	s_add_co_i32 s24, s24, 0x10000
	s_delay_alu instid0(SALU_CYCLE_1)
	s_cmp_lt_u32 s24, s3
	s_cbranch_scc0 .LBB42_16
.LBB42_4:                               ; =>This Loop Header: Depth=1
                                        ;     Child Loop BB42_7 Depth 2
                                        ;       Child Loop BB42_10 Depth 3
	s_and_not1_b32 vcc_lo, exec_lo, s33
	s_wait_alu 0xfffe
	s_cbranch_vccnz .LBB42_3
; %bb.5:                                ;   in Loop: Header=BB42_4 Depth=1
	s_lshl_b64 s[34:35], s[24:25], 3
	s_wait_alu 0xfffe
	s_add_nc_u64 s[36:37], s[16:17], s[34:35]
	s_add_nc_u64 s[40:41], s[6:7], s[34:35]
	s_load_b64 s[36:37], s[36:37], 0x0
	s_add_nc_u64 s[34:35], s[12:13], s[34:35]
	s_load_b64 s[40:41], s[40:41], 0x0
	s_load_b64 s[42:43], s[34:35], 0x0
	s_load_b32 s39, s[30:31], 0x4
	s_wait_kmcnt 0x0
	s_add_nc_u64 s[34:35], s[36:37], s[18:19]
	s_add_nc_u64 s[36:37], s[42:43], s[14:15]
	s_wait_alu 0xfffe
	v_add_co_u32 v19, vcc_lo, s34, v1
	s_wait_alu 0xfffd
	v_add_co_ci_u32_e64 v20, null, s35, v2, vcc_lo
	s_add_nc_u64 s[34:35], s[40:41], s[8:9]
	s_mov_b32 s40, s20
	s_branch .LBB42_7
.LBB42_6:                               ;   in Loop: Header=BB42_7 Depth=2
	s_add_co_i32 s40, s40, s39
	s_wait_alu 0xfffe
	s_cmp_gt_i32 s40, s23
	s_cbranch_scc1 .LBB42_3
.LBB42_7:                               ;   Parent Loop BB42_4 Depth=1
                                        ; =>  This Loop Header: Depth=2
                                        ;       Child Loop BB42_10 Depth 3
	s_and_not1_b32 vcc_lo, exec_lo, s38
	s_wait_alu 0xfffe
	s_cbranch_vccnz .LBB42_6
; %bb.8:                                ;   in Loop: Header=BB42_7 Depth=2
	v_lshl_add_u32 v7, s40, 5, v11
	s_mov_b32 s42, 0
	s_delay_alu instid0(VALU_DEP_1) | instskip(SKIP_3) | instid1(VALU_DEP_4)
	v_ashrrev_i32_e32 v8, 31, v7
	v_mul_lo_u32 v9, s29, v7
	v_mad_co_u64_u32 v[3:4], null, s28, v7, 0
	v_mul_lo_u32 v22, s27, v7
	v_mul_lo_u32 v21, s28, v8
	v_mad_co_u64_u32 v[5:6], null, s26, v7, 0
	v_mul_lo_u32 v8, s26, v8
	v_cmp_gt_i32_e32 vcc_lo, s22, v7
	s_delay_alu instid0(VALU_DEP_4) | instskip(SKIP_1) | instid1(VALU_DEP_3)
	v_add3_u32 v4, v4, v21, v9
	s_and_b32 s41, s1, vcc_lo
	v_add3_u32 v6, v6, v8, v22
	s_delay_alu instid0(VALU_DEP_2) | instskip(NEXT) | instid1(VALU_DEP_2)
	v_lshlrev_b64_e32 v[3:4], 3, v[3:4]
	v_lshlrev_b64_e32 v[5:6], 3, v[5:6]
	s_delay_alu instid0(VALU_DEP_2) | instskip(SKIP_1) | instid1(VALU_DEP_3)
	v_add_co_u32 v21, s2, s36, v3
	s_wait_alu 0xf1ff
	v_add_co_ci_u32_e64 v22, null, s37, v4, s2
	s_delay_alu instid0(VALU_DEP_3)
	v_add_co_u32 v3, s2, v19, v5
	s_wait_alu 0xf1ff
	v_add_co_ci_u32_e64 v4, null, v20, v6, s2
	s_branch .LBB42_10
.LBB42_9:                               ;   in Loop: Header=BB42_10 Depth=3
	s_wait_alu 0xfffe
	s_or_b32 exec_lo, exec_lo, s2
	s_add_co_i32 s42, s42, 32
	s_wait_storecnt 0x0
	s_wait_loadcnt_dscnt 0x0
	s_wait_alu 0xfffe
	s_cmp_ge_i32 s42, s21
	s_barrier_signal -1
	s_barrier_wait -1
	global_inv scope:SCOPE_SE
	s_cbranch_scc1 .LBB42_6
.LBB42_10:                              ;   Parent Loop BB42_4 Depth=1
                                        ;     Parent Loop BB42_7 Depth=2
                                        ; =>    This Inner Loop Header: Depth=3
	s_wait_alu 0xfffe
	v_dual_mov_b32 v8, 0 :: v_dual_add_nc_u32 v5, s42, v11
	s_mov_b32 s43, exec_lo
	v_mov_b32_e32 v9, 0
	s_delay_alu instid0(VALU_DEP_2) | instskip(SKIP_1) | instid1(VALU_DEP_1)
	v_cndmask_b32_e64 v6, v5, v0, s0
	v_cndmask_b32_e64 v7, v0, v5, s0
	v_cmp_gt_i32_e64 s2, v6, v7
	s_wait_alu 0xf1ff
	s_delay_alu instid0(VALU_DEP_1) | instskip(SKIP_3) | instid1(VALU_DEP_3)
	v_cndmask_b32_e64 v7, v0, v5, s2
	v_cndmask_b32_e64 v23, v5, v0, s2
	v_mov_b32_e32 v5, 0
	v_mov_b32_e32 v6, 0
	v_max_i32_e32 v24, v7, v23
	s_delay_alu instid0(VALU_DEP_1)
	v_cmpx_gt_i32_e64 s21, v24
	s_cbranch_execz .LBB42_12
; %bb.11:                               ;   in Loop: Header=BB42_10 Depth=3
	v_ashrrev_i32_e32 v8, 31, v23
	v_mul_lo_u32 v9, s11, v23
	v_mad_co_u64_u32 v[23:24], null, s10, v23, 0
	s_delay_alu instid0(VALU_DEP_3) | instskip(NEXT) | instid1(VALU_DEP_1)
	v_mul_lo_u32 v8, s10, v8
	v_add3_u32 v24, v24, v8, v9
	v_ashrrev_i32_e32 v8, 31, v7
	s_delay_alu instid0(VALU_DEP_2) | instskip(NEXT) | instid1(VALU_DEP_2)
	v_lshlrev_b64_e32 v[23:24], 3, v[23:24]
	v_lshlrev_b64_e32 v[7:8], 3, v[7:8]
	s_delay_alu instid0(VALU_DEP_2) | instskip(SKIP_1) | instid1(VALU_DEP_3)
	v_add_co_u32 v9, s2, s34, v23
	s_wait_alu 0xf1ff
	v_add_co_ci_u32_e64 v23, null, s35, v24, s2
	s_delay_alu instid0(VALU_DEP_2) | instskip(SKIP_1) | instid1(VALU_DEP_2)
	v_add_co_u32 v7, s2, v9, v7
	s_wait_alu 0xf1ff
	v_add_co_ci_u32_e64 v8, null, v23, v8, s2
	flat_load_b64 v[8:9], v[7:8]
.LBB42_12:                              ;   in Loop: Header=BB42_10 Depth=3
	s_wait_alu 0xfffe
	s_or_b32 exec_lo, exec_lo, s43
	v_add_nc_u32_e32 v7, s42, v10
	s_wait_loadcnt_dscnt 0x0
	ds_store_b64 v13, v[8:9]
	v_cmp_gt_i32_e64 s2, s21, v7
	s_and_b32 s2, s2, vcc_lo
	s_wait_alu 0xfffe
	s_and_saveexec_b32 s43, s2
	s_cbranch_execz .LBB42_14
; %bb.13:                               ;   in Loop: Header=BB42_10 Depth=3
	v_ashrrev_i32_e32 v8, 31, v7
	s_delay_alu instid0(VALU_DEP_1) | instskip(NEXT) | instid1(VALU_DEP_1)
	v_lshlrev_b64_e32 v[5:6], 3, v[7:8]
	v_add_co_u32 v5, s2, v21, v5
	s_wait_alu 0xf1ff
	s_delay_alu instid0(VALU_DEP_2)
	v_add_co_ci_u32_e64 v6, null, v22, v6, s2
	flat_load_b64 v[5:6], v[5:6]
.LBB42_14:                              ;   in Loop: Header=BB42_10 Depth=3
	s_wait_alu 0xfffe
	s_or_b32 exec_lo, exec_lo, s43
	s_wait_loadcnt_dscnt 0x0
	ds_store_b64 v15, v[5:6]
	s_wait_dscnt 0x0
	s_barrier_signal -1
	s_barrier_wait -1
	global_inv scope:SCOPE_SE
	s_and_saveexec_b32 s2, s41
	s_cbranch_execz .LBB42_9
; %bb.15:                               ;   in Loop: Header=BB42_10 Depth=3
	ds_load_2addr_b64 v[5:8], v14 offset1:32
	ds_load_b128 v[23:26], v12
	ds_load_b128 v[27:30], v12 offset:16
	s_wait_dscnt 0x1
	v_fma_f64 v[5:6], v[23:24], v[5:6], 0
	s_delay_alu instid0(VALU_DEP_1) | instskip(SKIP_3) | instid1(VALU_DEP_1)
	v_fma_f64 v[23:24], v[25:26], v[7:8], v[5:6]
	ds_load_2addr_b64 v[5:8], v14 offset0:64 offset1:96
	s_wait_dscnt 0x0
	v_fma_f64 v[5:6], v[27:28], v[5:6], v[23:24]
	v_fma_f64 v[31:32], v[29:30], v[7:8], v[5:6]
	ds_load_2addr_b64 v[5:8], v14 offset0:128 offset1:160
	ds_load_b128 v[23:26], v12 offset:32
	ds_load_b128 v[27:30], v12 offset:48
	s_wait_dscnt 0x1
	v_fma_f64 v[5:6], v[23:24], v[5:6], v[31:32]
	s_delay_alu instid0(VALU_DEP_1) | instskip(SKIP_3) | instid1(VALU_DEP_1)
	v_fma_f64 v[23:24], v[25:26], v[7:8], v[5:6]
	ds_load_2addr_b64 v[5:8], v14 offset0:192 offset1:224
	s_wait_dscnt 0x0
	v_fma_f64 v[5:6], v[27:28], v[5:6], v[23:24]
	v_fma_f64 v[31:32], v[29:30], v[7:8], v[5:6]
	ds_load_2addr_b64 v[5:8], v16 offset1:32
	ds_load_b128 v[23:26], v12 offset:64
	ds_load_b128 v[27:30], v12 offset:80
	s_wait_dscnt 0x1
	v_fma_f64 v[5:6], v[23:24], v[5:6], v[31:32]
	s_delay_alu instid0(VALU_DEP_1) | instskip(SKIP_3) | instid1(VALU_DEP_1)
	v_fma_f64 v[23:24], v[25:26], v[7:8], v[5:6]
	ds_load_2addr_b64 v[5:8], v16 offset0:64 offset1:96
	s_wait_dscnt 0x0
	v_fma_f64 v[5:6], v[27:28], v[5:6], v[23:24]
	v_fma_f64 v[31:32], v[29:30], v[7:8], v[5:6]
	ds_load_2addr_b64 v[5:8], v16 offset0:128 offset1:160
	ds_load_b128 v[23:26], v12 offset:96
	ds_load_b128 v[27:30], v12 offset:112
	s_wait_dscnt 0x1
	v_fma_f64 v[5:6], v[23:24], v[5:6], v[31:32]
	s_delay_alu instid0(VALU_DEP_1) | instskip(SKIP_3) | instid1(VALU_DEP_1)
	v_fma_f64 v[23:24], v[25:26], v[7:8], v[5:6]
	ds_load_2addr_b64 v[5:8], v16 offset0:192 offset1:224
	s_wait_dscnt 0x0
	v_fma_f64 v[5:6], v[27:28], v[5:6], v[23:24]
	v_fma_f64 v[31:32], v[29:30], v[7:8], v[5:6]
	ds_load_2addr_b64 v[5:8], v17 offset1:32
	ds_load_b128 v[23:26], v12 offset:128
	ds_load_b128 v[27:30], v12 offset:144
	s_wait_dscnt 0x1
	v_fma_f64 v[5:6], v[23:24], v[5:6], v[31:32]
	s_delay_alu instid0(VALU_DEP_1) | instskip(SKIP_3) | instid1(VALU_DEP_1)
	v_fma_f64 v[23:24], v[25:26], v[7:8], v[5:6]
	ds_load_2addr_b64 v[5:8], v17 offset0:64 offset1:96
	s_wait_dscnt 0x0
	v_fma_f64 v[5:6], v[27:28], v[5:6], v[23:24]
	v_fma_f64 v[31:32], v[29:30], v[7:8], v[5:6]
	ds_load_2addr_b64 v[5:8], v17 offset0:128 offset1:160
	ds_load_b128 v[23:26], v12 offset:160
	ds_load_b128 v[27:30], v12 offset:176
	s_wait_dscnt 0x1
	v_fma_f64 v[5:6], v[23:24], v[5:6], v[31:32]
	s_delay_alu instid0(VALU_DEP_1) | instskip(SKIP_3) | instid1(VALU_DEP_1)
	v_fma_f64 v[23:24], v[25:26], v[7:8], v[5:6]
	ds_load_2addr_b64 v[5:8], v17 offset0:192 offset1:224
	s_wait_dscnt 0x0
	v_fma_f64 v[5:6], v[27:28], v[5:6], v[23:24]
	v_fma_f64 v[31:32], v[29:30], v[7:8], v[5:6]
	ds_load_b128 v[5:8], v12 offset:192
	ds_load_2addr_b64 v[23:26], v18 offset1:32
	flat_load_b64 v[33:34], v[3:4]
	ds_load_b128 v[27:30], v12 offset:208
	s_wait_dscnt 0x2
	v_fma_f64 v[5:6], v[5:6], v[23:24], v[31:32]
	s_delay_alu instid0(VALU_DEP_1) | instskip(SKIP_3) | instid1(VALU_DEP_1)
	v_fma_f64 v[23:24], v[7:8], v[25:26], v[5:6]
	ds_load_2addr_b64 v[5:8], v18 offset0:64 offset1:96
	s_wait_dscnt 0x0
	v_fma_f64 v[5:6], v[27:28], v[5:6], v[23:24]
	v_fma_f64 v[31:32], v[29:30], v[7:8], v[5:6]
	ds_load_2addr_b64 v[5:8], v18 offset0:128 offset1:160
	ds_load_b128 v[23:26], v12 offset:224
	ds_load_b128 v[27:30], v12 offset:240
	s_wait_dscnt 0x1
	v_fma_f64 v[5:6], v[23:24], v[5:6], v[31:32]
	s_delay_alu instid0(VALU_DEP_1) | instskip(SKIP_3) | instid1(VALU_DEP_1)
	v_fma_f64 v[23:24], v[25:26], v[7:8], v[5:6]
	ds_load_2addr_b64 v[5:8], v18 offset0:192 offset1:224
	s_wait_dscnt 0x0
	v_fma_f64 v[5:6], v[27:28], v[5:6], v[23:24]
	v_fma_f64 v[5:6], v[29:30], v[7:8], v[5:6]
	s_wait_loadcnt 0x0
	s_delay_alu instid0(VALU_DEP_1)
	v_fma_f64 v[5:6], s[4:5], v[5:6], v[33:34]
	flat_store_b64 v[3:4], v[5:6]
	s_branch .LBB42_9
.LBB42_16:
	s_endpgm
	.section	.rodata,"a",@progbits
	.p2align	6, 0x0
	.amdhsa_kernel _ZL24rocblas_symm_hemm_kernelILb0ELb0ELi32EdPKPKdPKPdEvbiiT2_T3_lllS8_lllT4_llli
		.amdhsa_group_segment_fixed_size 16384
		.amdhsa_private_segment_fixed_size 0
		.amdhsa_kernarg_size 384
		.amdhsa_user_sgpr_count 2
		.amdhsa_user_sgpr_dispatch_ptr 0
		.amdhsa_user_sgpr_queue_ptr 0
		.amdhsa_user_sgpr_kernarg_segment_ptr 1
		.amdhsa_user_sgpr_dispatch_id 0
		.amdhsa_user_sgpr_private_segment_size 0
		.amdhsa_wavefront_size32 1
		.amdhsa_uses_dynamic_stack 0
		.amdhsa_enable_private_segment 0
		.amdhsa_system_sgpr_workgroup_id_x 1
		.amdhsa_system_sgpr_workgroup_id_y 1
		.amdhsa_system_sgpr_workgroup_id_z 1
		.amdhsa_system_sgpr_workgroup_info 0
		.amdhsa_system_vgpr_workitem_id 1
		.amdhsa_next_free_vgpr 35
		.amdhsa_next_free_sgpr 44
		.amdhsa_reserve_vcc 1
		.amdhsa_float_round_mode_32 0
		.amdhsa_float_round_mode_16_64 0
		.amdhsa_float_denorm_mode_32 3
		.amdhsa_float_denorm_mode_16_64 3
		.amdhsa_fp16_overflow 0
		.amdhsa_workgroup_processor_mode 1
		.amdhsa_memory_ordered 1
		.amdhsa_forward_progress 1
		.amdhsa_inst_pref_size 14
		.amdhsa_round_robin_scheduling 0
		.amdhsa_exception_fp_ieee_invalid_op 0
		.amdhsa_exception_fp_denorm_src 0
		.amdhsa_exception_fp_ieee_div_zero 0
		.amdhsa_exception_fp_ieee_overflow 0
		.amdhsa_exception_fp_ieee_underflow 0
		.amdhsa_exception_fp_ieee_inexact 0
		.amdhsa_exception_int_div_zero 0
	.end_amdhsa_kernel
	.section	.text._ZL24rocblas_symm_hemm_kernelILb0ELb0ELi32EdPKPKdPKPdEvbiiT2_T3_lllS8_lllT4_llli,"axG",@progbits,_ZL24rocblas_symm_hemm_kernelILb0ELb0ELi32EdPKPKdPKPdEvbiiT2_T3_lllS8_lllT4_llli,comdat
.Lfunc_end42:
	.size	_ZL24rocblas_symm_hemm_kernelILb0ELb0ELi32EdPKPKdPKPdEvbiiT2_T3_lllS8_lllT4_llli, .Lfunc_end42-_ZL24rocblas_symm_hemm_kernelILb0ELb0ELi32EdPKPKdPKPdEvbiiT2_T3_lllS8_lllT4_llli
                                        ; -- End function
	.set _ZL24rocblas_symm_hemm_kernelILb0ELb0ELi32EdPKPKdPKPdEvbiiT2_T3_lllS8_lllT4_llli.num_vgpr, 35
	.set _ZL24rocblas_symm_hemm_kernelILb0ELb0ELi32EdPKPKdPKPdEvbiiT2_T3_lllS8_lllT4_llli.num_agpr, 0
	.set _ZL24rocblas_symm_hemm_kernelILb0ELb0ELi32EdPKPKdPKPdEvbiiT2_T3_lllS8_lllT4_llli.numbered_sgpr, 44
	.set _ZL24rocblas_symm_hemm_kernelILb0ELb0ELi32EdPKPKdPKPdEvbiiT2_T3_lllS8_lllT4_llli.num_named_barrier, 0
	.set _ZL24rocblas_symm_hemm_kernelILb0ELb0ELi32EdPKPKdPKPdEvbiiT2_T3_lllS8_lllT4_llli.private_seg_size, 0
	.set _ZL24rocblas_symm_hemm_kernelILb0ELb0ELi32EdPKPKdPKPdEvbiiT2_T3_lllS8_lllT4_llli.uses_vcc, 1
	.set _ZL24rocblas_symm_hemm_kernelILb0ELb0ELi32EdPKPKdPKPdEvbiiT2_T3_lllS8_lllT4_llli.uses_flat_scratch, 0
	.set _ZL24rocblas_symm_hemm_kernelILb0ELb0ELi32EdPKPKdPKPdEvbiiT2_T3_lllS8_lllT4_llli.has_dyn_sized_stack, 0
	.set _ZL24rocblas_symm_hemm_kernelILb0ELb0ELi32EdPKPKdPKPdEvbiiT2_T3_lllS8_lllT4_llli.has_recursion, 0
	.set _ZL24rocblas_symm_hemm_kernelILb0ELb0ELi32EdPKPKdPKPdEvbiiT2_T3_lllS8_lllT4_llli.has_indirect_call, 0
	.section	.AMDGPU.csdata,"",@progbits
; Kernel info:
; codeLenInByte = 1680
; TotalNumSgprs: 46
; NumVgprs: 35
; ScratchSize: 0
; MemoryBound: 0
; FloatMode: 240
; IeeeMode: 1
; LDSByteSize: 16384 bytes/workgroup (compile time only)
; SGPRBlocks: 0
; VGPRBlocks: 4
; NumSGPRsForWavesPerEU: 46
; NumVGPRsForWavesPerEU: 35
; Occupancy: 16
; WaveLimiterHint : 1
; COMPUTE_PGM_RSRC2:SCRATCH_EN: 0
; COMPUTE_PGM_RSRC2:USER_SGPR: 2
; COMPUTE_PGM_RSRC2:TRAP_HANDLER: 0
; COMPUTE_PGM_RSRC2:TGID_X_EN: 1
; COMPUTE_PGM_RSRC2:TGID_Y_EN: 1
; COMPUTE_PGM_RSRC2:TGID_Z_EN: 1
; COMPUTE_PGM_RSRC2:TIDIG_COMP_CNT: 1
	.section	.text._ZL24rocblas_symm_hemm_kernelILb0ELb1ELi32EdPKPKdPKPdEvbiiT2_T3_lllS8_lllT4_llli,"axG",@progbits,_ZL24rocblas_symm_hemm_kernelILb0ELb1ELi32EdPKPKdPKPdEvbiiT2_T3_lllS8_lllT4_llli,comdat
	.globl	_ZL24rocblas_symm_hemm_kernelILb0ELb1ELi32EdPKPKdPKPdEvbiiT2_T3_lllS8_lllT4_llli ; -- Begin function _ZL24rocblas_symm_hemm_kernelILb0ELb1ELi32EdPKPKdPKPdEvbiiT2_T3_lllS8_lllT4_llli
	.p2align	8
	.type	_ZL24rocblas_symm_hemm_kernelILb0ELb1ELi32EdPKPKdPKPdEvbiiT2_T3_lllS8_lllT4_llli,@function
_ZL24rocblas_symm_hemm_kernelILb0ELb1ELi32EdPKPKdPKPdEvbiiT2_T3_lllS8_lllT4_llli: ; @_ZL24rocblas_symm_hemm_kernelILb0ELb1ELi32EdPKPKdPKPdEvbiiT2_T3_lllS8_lllT4_llli
; %bb.0:
	s_load_b256 s[4:11], s[0:1], 0x10
	s_wait_kmcnt 0x0
	v_cmp_eq_f64_e64 s2, s[4:5], 0
	s_and_b32 vcc_lo, exec_lo, s2
	s_cbranch_vccnz .LBB43_16
; %bb.1:
	s_load_b32 s3, s[0:1], 0x78
	s_lshr_b32 s24, ttmp7, 16
	s_wait_kmcnt 0x0
	s_cmp_ge_u32 s24, s3
	s_cbranch_scc1 .LBB43_16
; %bb.2:
	s_clause 0x4
	s_load_b96 s[20:22], s[0:1], 0x0
	s_load_b128 s[12:15], s[0:1], 0x38
	s_load_b64 s[26:27], s[0:1], 0x68
	s_load_b64 s[28:29], s[0:1], 0x48
	s_load_b128 s[16:19], s[0:1], 0x58
	v_and_b32_e32 v9, 0x3ff, v0
	v_bfe_u32 v10, v0, 10, 10
	s_add_nc_u64 s[30:31], s[0:1], 0x80
	s_mov_b32 s25, 0
	s_delay_alu instid0(VALU_DEP_2) | instskip(NEXT) | instid1(VALU_DEP_2)
	v_lshl_add_u32 v2, ttmp9, 5, v9
	v_lshlrev_b32_e32 v0, 3, v10
	v_lshlrev_b32_e32 v11, 8, v9
	s_delay_alu instid0(VALU_DEP_3) | instskip(NEXT) | instid1(VALU_DEP_3)
	v_ashrrev_i32_e32 v3, 31, v2
	v_or_b32_e32 v12, 0x2000, v0
	s_delay_alu instid0(VALU_DEP_3) | instskip(NEXT) | instid1(VALU_DEP_3)
	v_add_nc_u32_e32 v13, v11, v0
	v_lshlrev_b64_e32 v[0:1], 3, v[2:3]
	s_delay_alu instid0(VALU_DEP_3)
	v_add_nc_u32_e32 v14, v12, v11
	s_wait_kmcnt 0x0
	s_bitcmp1_b32 s20, 0
	v_add_nc_u32_e32 v15, 0x800, v12
	s_cselect_b32 s0, -1, 0
	s_add_co_i32 s1, s22, -1
	s_wait_alu 0xfffe
	s_and_b32 s23, ttmp7, 0xffff
	s_ashr_i32 s2, s1, 31
	v_add_nc_u32_e32 v16, 0x1000, v12
	s_lshr_b32 s2, s2, 27
	v_add_nc_u32_e32 v17, 0x1800, v12
	s_add_co_i32 s1, s1, s2
	s_wait_alu 0xfffe
	s_ashr_i32 s33, s1, 5
	v_cmp_gt_i32_e64 s1, s21, v2
	s_cmp_le_i32 s23, s33
	s_cselect_b32 s34, -1, 0
	s_cmp_gt_i32 s22, 0
	s_cselect_b32 s35, -1, 0
	s_lshl_b64 s[8:9], s[8:9], 3
	s_lshl_b64 s[18:19], s[18:19], 3
	;; [unrolled: 1-line block ×3, first 2 shown]
	s_branch .LBB43_4
.LBB43_3:                               ;   in Loop: Header=BB43_4 Depth=1
	s_add_co_i32 s24, s24, 0x10000
	s_delay_alu instid0(SALU_CYCLE_1)
	s_cmp_lt_u32 s24, s3
	s_cbranch_scc0 .LBB43_16
.LBB43_4:                               ; =>This Loop Header: Depth=1
                                        ;     Child Loop BB43_7 Depth 2
                                        ;       Child Loop BB43_10 Depth 3
	s_and_not1_b32 vcc_lo, exec_lo, s34
	s_wait_alu 0xfffe
	s_cbranch_vccnz .LBB43_3
; %bb.5:                                ;   in Loop: Header=BB43_4 Depth=1
	s_lshl_b64 s[20:21], s[24:25], 3
	s_wait_alu 0xfffe
	s_add_nc_u64 s[36:37], s[16:17], s[20:21]
	s_add_nc_u64 s[38:39], s[12:13], s[20:21]
	s_load_b64 s[40:41], s[36:37], 0x0
	s_load_b64 s[38:39], s[38:39], 0x0
	s_add_nc_u64 s[20:21], s[6:7], s[20:21]
	s_load_b64 s[20:21], s[20:21], 0x0
	s_load_b32 s36, s[30:31], 0x4
	s_mov_b32 s37, s23
	s_wait_kmcnt 0x0
	s_add_nc_u64 s[40:41], s[40:41], s[18:19]
	s_add_nc_u64 s[38:39], s[38:39], s[14:15]
	;; [unrolled: 1-line block ×3, first 2 shown]
	s_wait_alu 0xfffe
	v_add_co_u32 v18, vcc_lo, s38, v0
	s_wait_alu 0xfffd
	v_add_co_ci_u32_e64 v19, null, s39, v1, vcc_lo
	v_add_co_u32 v20, vcc_lo, s40, v0
	s_wait_alu 0xfffd
	v_add_co_ci_u32_e64 v21, null, s41, v1, vcc_lo
	s_branch .LBB43_7
.LBB43_6:                               ;   in Loop: Header=BB43_7 Depth=2
	s_add_co_i32 s37, s37, s36
	s_wait_alu 0xfffe
	s_cmp_gt_i32 s37, s33
	s_cbranch_scc1 .LBB43_3
.LBB43_7:                               ;   Parent Loop BB43_4 Depth=1
                                        ; =>  This Loop Header: Depth=2
                                        ;       Child Loop BB43_10 Depth 3
	s_and_not1_b32 vcc_lo, exec_lo, s35
	s_wait_alu 0xfffe
	s_cbranch_vccnz .LBB43_6
; %bb.8:                                ;   in Loop: Header=BB43_7 Depth=2
	v_lshl_add_u32 v22, s37, 5, v10
	s_mov_b32 s38, 0
	s_delay_alu instid0(VALU_DEP_1) | instskip(SKIP_3) | instid1(VALU_DEP_4)
	v_ashrrev_i32_e32 v4, 31, v22
	v_mul_lo_u32 v5, s27, v22
	v_mad_co_u64_u32 v[2:3], null, s26, v22, 0
	v_cmp_gt_i32_e32 vcc_lo, s22, v22
	v_mul_lo_u32 v4, s26, v4
	s_delay_alu instid0(VALU_DEP_1) | instskip(NEXT) | instid1(VALU_DEP_1)
	v_add3_u32 v3, v3, v4, v5
	v_lshlrev_b64_e32 v[2:3], 3, v[2:3]
	s_delay_alu instid0(VALU_DEP_1) | instskip(SKIP_1) | instid1(VALU_DEP_2)
	v_add_co_u32 v2, s2, v20, v2
	s_wait_alu 0xf1ff
	v_add_co_ci_u32_e64 v3, null, v21, v3, s2
	s_and_b32 s2, s1, vcc_lo
	s_branch .LBB43_10
.LBB43_9:                               ;   in Loop: Header=BB43_10 Depth=3
	s_wait_alu 0xfffe
	s_or_b32 exec_lo, exec_lo, s39
	s_add_co_i32 s38, s38, 32
	s_wait_storecnt 0x0
	s_wait_loadcnt_dscnt 0x0
	s_wait_alu 0xfffe
	s_cmp_ge_i32 s38, s22
	s_barrier_signal -1
	s_barrier_wait -1
	global_inv scope:SCOPE_SE
	s_cbranch_scc1 .LBB43_6
.LBB43_10:                              ;   Parent Loop BB43_4 Depth=1
                                        ;     Parent Loop BB43_7 Depth=2
                                        ; =>    This Inner Loop Header: Depth=3
	s_wait_alu 0xfffe
	v_add_nc_u32_e32 v6, s38, v10
	v_dual_mov_b32 v4, 0 :: v_dual_mov_b32 v7, 0
	v_dual_mov_b32 v5, 0 :: v_dual_mov_b32 v8, 0
	s_delay_alu instid0(VALU_DEP_3)
	v_cmp_gt_i32_e32 vcc_lo, s22, v6
	s_and_b32 s40, s1, vcc_lo
	s_wait_alu 0xfffe
	s_and_saveexec_b32 s39, s40
	s_cbranch_execz .LBB43_12
; %bb.11:                               ;   in Loop: Header=BB43_10 Depth=3
	v_ashrrev_i32_e32 v8, 31, v6
	v_mul_lo_u32 v23, s29, v6
	v_mad_co_u64_u32 v[6:7], null, s28, v6, 0
	s_delay_alu instid0(VALU_DEP_3) | instskip(NEXT) | instid1(VALU_DEP_1)
	v_mul_lo_u32 v8, s28, v8
	v_add3_u32 v7, v7, v8, v23
	s_delay_alu instid0(VALU_DEP_1) | instskip(NEXT) | instid1(VALU_DEP_1)
	v_lshlrev_b64_e32 v[6:7], 3, v[6:7]
	v_add_co_u32 v6, vcc_lo, v18, v6
	s_wait_alu 0xfffd
	s_delay_alu instid0(VALU_DEP_2)
	v_add_co_ci_u32_e64 v7, null, v19, v7, vcc_lo
	flat_load_b64 v[7:8], v[6:7]
.LBB43_12:                              ;   in Loop: Header=BB43_10 Depth=3
	s_wait_alu 0xfffe
	s_or_b32 exec_lo, exec_lo, s39
	v_add_nc_u32_e32 v23, s38, v9
	s_mov_b32 s39, exec_lo
	s_wait_loadcnt_dscnt 0x0
	ds_store_b64 v13, v[7:8]
	v_cndmask_b32_e64 v6, v22, v23, s0
	v_cndmask_b32_e64 v24, v23, v22, s0
	s_delay_alu instid0(VALU_DEP_1) | instskip(SKIP_2) | instid1(VALU_DEP_1)
	v_cmp_gt_i32_e32 vcc_lo, v6, v24
	s_wait_alu 0xfffd
	v_dual_cndmask_b32 v6, v23, v22 :: v_dual_cndmask_b32 v23, v22, v23
	v_max_i32_e32 v24, v6, v23
	s_delay_alu instid0(VALU_DEP_1)
	v_cmpx_gt_i32_e64 s22, v24
	s_cbranch_execz .LBB43_14
; %bb.13:                               ;   in Loop: Header=BB43_10 Depth=3
	v_ashrrev_i32_e32 v7, 31, v23
	v_mul_lo_u32 v8, s11, v23
	v_mad_co_u64_u32 v[4:5], null, s10, v23, 0
	s_delay_alu instid0(VALU_DEP_3) | instskip(NEXT) | instid1(VALU_DEP_1)
	v_mul_lo_u32 v7, s10, v7
	v_add3_u32 v5, v5, v7, v8
	v_ashrrev_i32_e32 v7, 31, v6
	s_delay_alu instid0(VALU_DEP_2) | instskip(NEXT) | instid1(VALU_DEP_2)
	v_lshlrev_b64_e32 v[4:5], 3, v[4:5]
	v_lshlrev_b64_e32 v[6:7], 3, v[6:7]
	s_delay_alu instid0(VALU_DEP_2) | instskip(SKIP_1) | instid1(VALU_DEP_3)
	v_add_co_u32 v4, vcc_lo, s20, v4
	s_wait_alu 0xfffd
	v_add_co_ci_u32_e64 v5, null, s21, v5, vcc_lo
	s_delay_alu instid0(VALU_DEP_2) | instskip(SKIP_1) | instid1(VALU_DEP_2)
	v_add_co_u32 v4, vcc_lo, v4, v6
	s_wait_alu 0xfffd
	v_add_co_ci_u32_e64 v5, null, v5, v7, vcc_lo
	flat_load_b64 v[4:5], v[4:5]
.LBB43_14:                              ;   in Loop: Header=BB43_10 Depth=3
	s_wait_alu 0xfffe
	s_or_b32 exec_lo, exec_lo, s39
	s_wait_loadcnt_dscnt 0x0
	ds_store_b64 v14, v[4:5]
	s_wait_dscnt 0x0
	s_barrier_signal -1
	s_barrier_wait -1
	global_inv scope:SCOPE_SE
	s_and_saveexec_b32 s39, s2
	s_cbranch_execz .LBB43_9
; %bb.15:                               ;   in Loop: Header=BB43_10 Depth=3
	ds_load_2addr_b64 v[4:7], v12 offset1:32
	ds_load_b128 v[23:26], v11
	ds_load_b128 v[27:30], v11 offset:16
	s_wait_dscnt 0x1
	v_fma_f64 v[4:5], v[23:24], v[4:5], 0
	s_delay_alu instid0(VALU_DEP_1) | instskip(SKIP_3) | instid1(VALU_DEP_1)
	v_fma_f64 v[23:24], v[25:26], v[6:7], v[4:5]
	ds_load_2addr_b64 v[4:7], v12 offset0:64 offset1:96
	s_wait_dscnt 0x0
	v_fma_f64 v[4:5], v[27:28], v[4:5], v[23:24]
	v_fma_f64 v[31:32], v[29:30], v[6:7], v[4:5]
	ds_load_2addr_b64 v[4:7], v12 offset0:128 offset1:160
	ds_load_b128 v[23:26], v11 offset:32
	ds_load_b128 v[27:30], v11 offset:48
	s_wait_dscnt 0x1
	v_fma_f64 v[4:5], v[23:24], v[4:5], v[31:32]
	s_delay_alu instid0(VALU_DEP_1) | instskip(SKIP_3) | instid1(VALU_DEP_1)
	v_fma_f64 v[23:24], v[25:26], v[6:7], v[4:5]
	ds_load_2addr_b64 v[4:7], v12 offset0:192 offset1:224
	s_wait_dscnt 0x0
	v_fma_f64 v[4:5], v[27:28], v[4:5], v[23:24]
	v_fma_f64 v[31:32], v[29:30], v[6:7], v[4:5]
	ds_load_2addr_b64 v[4:7], v15 offset1:32
	ds_load_b128 v[23:26], v11 offset:64
	ds_load_b128 v[27:30], v11 offset:80
	s_wait_dscnt 0x1
	v_fma_f64 v[4:5], v[23:24], v[4:5], v[31:32]
	s_delay_alu instid0(VALU_DEP_1) | instskip(SKIP_3) | instid1(VALU_DEP_1)
	v_fma_f64 v[23:24], v[25:26], v[6:7], v[4:5]
	ds_load_2addr_b64 v[4:7], v15 offset0:64 offset1:96
	s_wait_dscnt 0x0
	v_fma_f64 v[4:5], v[27:28], v[4:5], v[23:24]
	v_fma_f64 v[31:32], v[29:30], v[6:7], v[4:5]
	ds_load_2addr_b64 v[4:7], v15 offset0:128 offset1:160
	ds_load_b128 v[23:26], v11 offset:96
	ds_load_b128 v[27:30], v11 offset:112
	s_wait_dscnt 0x1
	v_fma_f64 v[4:5], v[23:24], v[4:5], v[31:32]
	s_delay_alu instid0(VALU_DEP_1) | instskip(SKIP_3) | instid1(VALU_DEP_1)
	v_fma_f64 v[23:24], v[25:26], v[6:7], v[4:5]
	ds_load_2addr_b64 v[4:7], v15 offset0:192 offset1:224
	s_wait_dscnt 0x0
	v_fma_f64 v[4:5], v[27:28], v[4:5], v[23:24]
	v_fma_f64 v[31:32], v[29:30], v[6:7], v[4:5]
	ds_load_2addr_b64 v[4:7], v16 offset1:32
	ds_load_b128 v[23:26], v11 offset:128
	ds_load_b128 v[27:30], v11 offset:144
	s_wait_dscnt 0x1
	v_fma_f64 v[4:5], v[23:24], v[4:5], v[31:32]
	s_delay_alu instid0(VALU_DEP_1) | instskip(SKIP_3) | instid1(VALU_DEP_1)
	v_fma_f64 v[23:24], v[25:26], v[6:7], v[4:5]
	ds_load_2addr_b64 v[4:7], v16 offset0:64 offset1:96
	s_wait_dscnt 0x0
	v_fma_f64 v[4:5], v[27:28], v[4:5], v[23:24]
	v_fma_f64 v[31:32], v[29:30], v[6:7], v[4:5]
	ds_load_2addr_b64 v[4:7], v16 offset0:128 offset1:160
	ds_load_b128 v[23:26], v11 offset:160
	ds_load_b128 v[27:30], v11 offset:176
	s_wait_dscnt 0x1
	v_fma_f64 v[4:5], v[23:24], v[4:5], v[31:32]
	s_delay_alu instid0(VALU_DEP_1) | instskip(SKIP_3) | instid1(VALU_DEP_1)
	v_fma_f64 v[23:24], v[25:26], v[6:7], v[4:5]
	ds_load_2addr_b64 v[4:7], v16 offset0:192 offset1:224
	s_wait_dscnt 0x0
	v_fma_f64 v[4:5], v[27:28], v[4:5], v[23:24]
	v_fma_f64 v[31:32], v[29:30], v[6:7], v[4:5]
	ds_load_b128 v[4:7], v11 offset:192
	ds_load_2addr_b64 v[23:26], v17 offset1:32
	flat_load_b64 v[33:34], v[2:3]
	ds_load_b128 v[27:30], v11 offset:208
	s_wait_dscnt 0x2
	v_fma_f64 v[4:5], v[4:5], v[23:24], v[31:32]
	s_delay_alu instid0(VALU_DEP_1) | instskip(SKIP_3) | instid1(VALU_DEP_1)
	v_fma_f64 v[23:24], v[6:7], v[25:26], v[4:5]
	ds_load_2addr_b64 v[4:7], v17 offset0:64 offset1:96
	s_wait_dscnt 0x0
	v_fma_f64 v[4:5], v[27:28], v[4:5], v[23:24]
	v_fma_f64 v[31:32], v[29:30], v[6:7], v[4:5]
	ds_load_2addr_b64 v[4:7], v17 offset0:128 offset1:160
	ds_load_b128 v[23:26], v11 offset:224
	ds_load_b128 v[27:30], v11 offset:240
	s_wait_dscnt 0x1
	v_fma_f64 v[4:5], v[23:24], v[4:5], v[31:32]
	s_delay_alu instid0(VALU_DEP_1) | instskip(SKIP_3) | instid1(VALU_DEP_1)
	v_fma_f64 v[23:24], v[25:26], v[6:7], v[4:5]
	ds_load_2addr_b64 v[4:7], v17 offset0:192 offset1:224
	s_wait_dscnt 0x0
	v_fma_f64 v[4:5], v[27:28], v[4:5], v[23:24]
	v_fma_f64 v[4:5], v[29:30], v[6:7], v[4:5]
	s_wait_loadcnt 0x0
	s_delay_alu instid0(VALU_DEP_1)
	v_fma_f64 v[4:5], s[4:5], v[4:5], v[33:34]
	flat_store_b64 v[2:3], v[4:5]
	s_branch .LBB43_9
.LBB43_16:
	s_endpgm
	.section	.rodata,"a",@progbits
	.p2align	6, 0x0
	.amdhsa_kernel _ZL24rocblas_symm_hemm_kernelILb0ELb1ELi32EdPKPKdPKPdEvbiiT2_T3_lllS8_lllT4_llli
		.amdhsa_group_segment_fixed_size 16384
		.amdhsa_private_segment_fixed_size 0
		.amdhsa_kernarg_size 384
		.amdhsa_user_sgpr_count 2
		.amdhsa_user_sgpr_dispatch_ptr 0
		.amdhsa_user_sgpr_queue_ptr 0
		.amdhsa_user_sgpr_kernarg_segment_ptr 1
		.amdhsa_user_sgpr_dispatch_id 0
		.amdhsa_user_sgpr_private_segment_size 0
		.amdhsa_wavefront_size32 1
		.amdhsa_uses_dynamic_stack 0
		.amdhsa_enable_private_segment 0
		.amdhsa_system_sgpr_workgroup_id_x 1
		.amdhsa_system_sgpr_workgroup_id_y 1
		.amdhsa_system_sgpr_workgroup_id_z 1
		.amdhsa_system_sgpr_workgroup_info 0
		.amdhsa_system_vgpr_workitem_id 1
		.amdhsa_next_free_vgpr 35
		.amdhsa_next_free_sgpr 42
		.amdhsa_reserve_vcc 1
		.amdhsa_float_round_mode_32 0
		.amdhsa_float_round_mode_16_64 0
		.amdhsa_float_denorm_mode_32 3
		.amdhsa_float_denorm_mode_16_64 3
		.amdhsa_fp16_overflow 0
		.amdhsa_workgroup_processor_mode 1
		.amdhsa_memory_ordered 1
		.amdhsa_forward_progress 1
		.amdhsa_inst_pref_size 13
		.amdhsa_round_robin_scheduling 0
		.amdhsa_exception_fp_ieee_invalid_op 0
		.amdhsa_exception_fp_denorm_src 0
		.amdhsa_exception_fp_ieee_div_zero 0
		.amdhsa_exception_fp_ieee_overflow 0
		.amdhsa_exception_fp_ieee_underflow 0
		.amdhsa_exception_fp_ieee_inexact 0
		.amdhsa_exception_int_div_zero 0
	.end_amdhsa_kernel
	.section	.text._ZL24rocblas_symm_hemm_kernelILb0ELb1ELi32EdPKPKdPKPdEvbiiT2_T3_lllS8_lllT4_llli,"axG",@progbits,_ZL24rocblas_symm_hemm_kernelILb0ELb1ELi32EdPKPKdPKPdEvbiiT2_T3_lllS8_lllT4_llli,comdat
.Lfunc_end43:
	.size	_ZL24rocblas_symm_hemm_kernelILb0ELb1ELi32EdPKPKdPKPdEvbiiT2_T3_lllS8_lllT4_llli, .Lfunc_end43-_ZL24rocblas_symm_hemm_kernelILb0ELb1ELi32EdPKPKdPKPdEvbiiT2_T3_lllS8_lllT4_llli
                                        ; -- End function
	.set _ZL24rocblas_symm_hemm_kernelILb0ELb1ELi32EdPKPKdPKPdEvbiiT2_T3_lllS8_lllT4_llli.num_vgpr, 35
	.set _ZL24rocblas_symm_hemm_kernelILb0ELb1ELi32EdPKPKdPKPdEvbiiT2_T3_lllS8_lllT4_llli.num_agpr, 0
	.set _ZL24rocblas_symm_hemm_kernelILb0ELb1ELi32EdPKPKdPKPdEvbiiT2_T3_lllS8_lllT4_llli.numbered_sgpr, 42
	.set _ZL24rocblas_symm_hemm_kernelILb0ELb1ELi32EdPKPKdPKPdEvbiiT2_T3_lllS8_lllT4_llli.num_named_barrier, 0
	.set _ZL24rocblas_symm_hemm_kernelILb0ELb1ELi32EdPKPKdPKPdEvbiiT2_T3_lllS8_lllT4_llli.private_seg_size, 0
	.set _ZL24rocblas_symm_hemm_kernelILb0ELb1ELi32EdPKPKdPKPdEvbiiT2_T3_lllS8_lllT4_llli.uses_vcc, 1
	.set _ZL24rocblas_symm_hemm_kernelILb0ELb1ELi32EdPKPKdPKPdEvbiiT2_T3_lllS8_lllT4_llli.uses_flat_scratch, 0
	.set _ZL24rocblas_symm_hemm_kernelILb0ELb1ELi32EdPKPKdPKPdEvbiiT2_T3_lllS8_lllT4_llli.has_dyn_sized_stack, 0
	.set _ZL24rocblas_symm_hemm_kernelILb0ELb1ELi32EdPKPKdPKPdEvbiiT2_T3_lllS8_lllT4_llli.has_recursion, 0
	.set _ZL24rocblas_symm_hemm_kernelILb0ELb1ELi32EdPKPKdPKPdEvbiiT2_T3_lllS8_lllT4_llli.has_indirect_call, 0
	.section	.AMDGPU.csdata,"",@progbits
; Kernel info:
; codeLenInByte = 1660
; TotalNumSgprs: 44
; NumVgprs: 35
; ScratchSize: 0
; MemoryBound: 0
; FloatMode: 240
; IeeeMode: 1
; LDSByteSize: 16384 bytes/workgroup (compile time only)
; SGPRBlocks: 0
; VGPRBlocks: 4
; NumSGPRsForWavesPerEU: 44
; NumVGPRsForWavesPerEU: 35
; Occupancy: 16
; WaveLimiterHint : 1
; COMPUTE_PGM_RSRC2:SCRATCH_EN: 0
; COMPUTE_PGM_RSRC2:USER_SGPR: 2
; COMPUTE_PGM_RSRC2:TRAP_HANDLER: 0
; COMPUTE_PGM_RSRC2:TGID_X_EN: 1
; COMPUTE_PGM_RSRC2:TGID_Y_EN: 1
; COMPUTE_PGM_RSRC2:TGID_Z_EN: 1
; COMPUTE_PGM_RSRC2:TIDIG_COMP_CNT: 1
	.section	.text._ZL25rocblas_symm_scale_kernelILi128ELi8EPK19rocblas_complex_numIfEPKPS1_EviiT1_T2_llli,"axG",@progbits,_ZL25rocblas_symm_scale_kernelILi128ELi8EPK19rocblas_complex_numIfEPKPS1_EviiT1_T2_llli,comdat
	.globl	_ZL25rocblas_symm_scale_kernelILi128ELi8EPK19rocblas_complex_numIfEPKPS1_EviiT1_T2_llli ; -- Begin function _ZL25rocblas_symm_scale_kernelILi128ELi8EPK19rocblas_complex_numIfEPKPS1_EviiT1_T2_llli
	.p2align	8
	.type	_ZL25rocblas_symm_scale_kernelILi128ELi8EPK19rocblas_complex_numIfEPKPS1_EviiT1_T2_llli,@function
_ZL25rocblas_symm_scale_kernelILi128ELi8EPK19rocblas_complex_numIfEPKPS1_EviiT1_T2_llli: ; @_ZL25rocblas_symm_scale_kernelILi128ELi8EPK19rocblas_complex_numIfEPKPS1_EviiT1_T2_llli
; %bb.0:
	s_load_b256 s[4:11], s[0:1], 0x8
	s_wait_kmcnt 0x0
	s_load_b64 s[4:5], s[4:5], 0x0
	s_wait_kmcnt 0x0
	s_cmp_eq_f32 s4, 1.0
	s_cselect_b32 s2, -1, 0
	s_cmp_eq_f32 s5, 0
	s_cselect_b32 s3, -1, 0
	s_delay_alu instid0(SALU_CYCLE_1) | instskip(NEXT) | instid1(SALU_CYCLE_1)
	s_and_b32 s2, s2, s3
	s_and_b32 vcc_lo, exec_lo, s2
	s_cbranch_vccnz .LBB44_9
; %bb.1:
	s_load_b32 s18, s[0:1], 0x30
	s_lshr_b32 s12, ttmp7, 16
	s_wait_kmcnt 0x0
	s_cmp_ge_u32 s12, s18
	s_cbranch_scc1 .LBB44_9
; %bb.2:
	v_bfe_u32 v1, v0, 10, 10
	s_and_b32 s2, ttmp7, 0xffff
	v_and_b32_e32 v0, 0x3ff, v0
	s_delay_alu instid0(VALU_DEP_2) | instskip(SKIP_1) | instid1(VALU_DEP_1)
	v_lshl_add_u32 v1, s2, 3, v1
	s_load_b64 s[2:3], s[0:1], 0x0
	v_mad_co_u64_u32 v[3:4], null, s10, v1, 0
	s_delay_alu instid0(VALU_DEP_1) | instskip(NEXT) | instid1(VALU_DEP_1)
	v_mov_b32_e32 v2, v4
	v_mad_co_u64_u32 v[4:5], null, s11, v1, v[2:3]
	v_mov_b32_e32 v2, 0
	v_lshl_add_u32 v5, ttmp9, 7, v0
	s_wait_kmcnt 0x0
	s_ashr_i32 s15, s3, 31
	s_mov_b32 s14, s3
	s_or_b32 s3, s4, s5
	v_cmp_gt_i64_e32 vcc_lo, s[14:15], v[1:2]
	v_cmp_gt_u32_e64 s2, s2, v5
	v_mov_b32_e32 v6, v2
	s_wait_alu 0xfffe
	s_bitset0_b32 s3, 31
	v_lshlrev_b64_e32 v[3:4], 3, v[3:4]
	s_and_b32 s19, s2, vcc_lo
	s_wait_alu 0xfffe
	s_cmp_lg_u32 s3, 0
	v_lshlrev_b64_e32 v[5:6], 3, v[5:6]
	s_cselect_b32 s20, -1, 0
	s_lshl_b64 s[2:3], s[8:9], 3
	s_add_nc_u64 s[8:9], s[0:1], 56
	s_wait_alu 0xfffe
	v_add_co_u32 v0, vcc_lo, v3, s2
	s_delay_alu instid0(VALU_DEP_1)
	v_add_co_ci_u32_e64 v3, null, s3, v4, vcc_lo
	s_mov_b32 s3, 0
	v_add_co_u32 v4, vcc_lo, v0, v5
	s_wait_alu 0xfffd
	v_add_co_ci_u32_e64 v0, null, v3, v6, vcc_lo
	s_lshl_b64 s[10:11], s[10:11], 3
	v_or_b32_e32 v9, 4, v4
	s_branch .LBB44_4
.LBB44_3:                               ;   in Loop: Header=BB44_4 Depth=1
	s_wait_alu 0xfffe
	s_or_b32 exec_lo, exec_lo, s1
	s_add_co_i32 s12, s12, 0x10000
	s_delay_alu instid0(SALU_CYCLE_1)
	s_cmp_lt_u32 s12, s18
	s_cbranch_scc0 .LBB44_9
.LBB44_4:                               ; =>This Loop Header: Depth=1
                                        ;     Child Loop BB44_7 Depth 2
	s_and_saveexec_b32 s1, s19
	s_cbranch_execz .LBB44_3
; %bb.5:                                ;   in Loop: Header=BB44_4 Depth=1
	s_wait_alu 0xfffe
	s_mov_b32 s13, s3
	s_load_b32 s0, s[8:9], 0x4
	s_lshl_b64 s[16:17], s[12:13], 3
	v_dual_mov_b32 v6, v2 :: v_dual_mov_b32 v5, v1
	s_wait_alu 0xfffe
	s_add_nc_u64 s[16:17], s[6:7], s[16:17]
	s_mov_b32 s13, 0
	global_load_b64 v[3:4], v2, s[16:17]
	s_wait_kmcnt 0x0
	s_lshl_b32 s2, s0, 3
	s_wait_alu 0xfffe
	s_mul_u64 s[16:17], s[10:11], s[2:3]
	s_wait_loadcnt 0x0
	v_add_co_u32 v3, vcc_lo, v3, v9
	s_wait_alu 0xfffd
	v_add_co_ci_u32_e64 v4, null, v4, v0, vcc_lo
	s_branch .LBB44_7
.LBB44_6:                               ;   in Loop: Header=BB44_7 Depth=2
	v_add_co_u32 v5, vcc_lo, v5, s2
	s_wait_alu 0xfffd
	v_add_co_ci_u32_e64 v6, null, 0, v6, vcc_lo
	flat_store_b64 v[3:4], v[7:8] offset:-4
	v_add_co_u32 v3, s0, v3, s16
	v_cmp_le_i64_e32 vcc_lo, s[14:15], v[5:6]
	s_wait_alu 0xf1ff
	v_add_co_ci_u32_e64 v4, null, s17, v4, s0
	s_or_b32 s13, vcc_lo, s13
	s_delay_alu instid0(SALU_CYCLE_1)
	s_and_not1_b32 exec_lo, exec_lo, s13
	s_cbranch_execz .LBB44_3
.LBB44_7:                               ;   Parent Loop BB44_4 Depth=1
                                        ; =>  This Inner Loop Header: Depth=2
	v_dual_mov_b32 v8, 0 :: v_dual_mov_b32 v7, 0
	s_and_not1_b32 vcc_lo, exec_lo, s20
	s_wait_alu 0xfffe
	s_cbranch_vccnz .LBB44_6
; %bb.8:                                ;   in Loop: Header=BB44_7 Depth=2
	flat_load_b64 v[10:11], v[3:4] offset:-4
	s_wait_loadcnt_dscnt 0x0
	v_mul_f32_e32 v8, s4, v11
	s_delay_alu instid0(VALU_DEP_1) | instskip(NEXT) | instid1(VALU_DEP_1)
	v_dual_mul_f32 v7, s5, v11 :: v_dual_fmac_f32 v8, s5, v10
	v_fma_f32 v7, v10, s4, -v7
	s_branch .LBB44_6
.LBB44_9:
	s_endpgm
	.section	.rodata,"a",@progbits
	.p2align	6, 0x0
	.amdhsa_kernel _ZL25rocblas_symm_scale_kernelILi128ELi8EPK19rocblas_complex_numIfEPKPS1_EviiT1_T2_llli
		.amdhsa_group_segment_fixed_size 0
		.amdhsa_private_segment_fixed_size 0
		.amdhsa_kernarg_size 312
		.amdhsa_user_sgpr_count 2
		.amdhsa_user_sgpr_dispatch_ptr 0
		.amdhsa_user_sgpr_queue_ptr 0
		.amdhsa_user_sgpr_kernarg_segment_ptr 1
		.amdhsa_user_sgpr_dispatch_id 0
		.amdhsa_user_sgpr_private_segment_size 0
		.amdhsa_wavefront_size32 1
		.amdhsa_uses_dynamic_stack 0
		.amdhsa_enable_private_segment 0
		.amdhsa_system_sgpr_workgroup_id_x 1
		.amdhsa_system_sgpr_workgroup_id_y 1
		.amdhsa_system_sgpr_workgroup_id_z 1
		.amdhsa_system_sgpr_workgroup_info 0
		.amdhsa_system_vgpr_workitem_id 1
		.amdhsa_next_free_vgpr 12
		.amdhsa_next_free_sgpr 21
		.amdhsa_reserve_vcc 1
		.amdhsa_float_round_mode_32 0
		.amdhsa_float_round_mode_16_64 0
		.amdhsa_float_denorm_mode_32 3
		.amdhsa_float_denorm_mode_16_64 3
		.amdhsa_fp16_overflow 0
		.amdhsa_workgroup_processor_mode 1
		.amdhsa_memory_ordered 1
		.amdhsa_forward_progress 1
		.amdhsa_inst_pref_size 5
		.amdhsa_round_robin_scheduling 0
		.amdhsa_exception_fp_ieee_invalid_op 0
		.amdhsa_exception_fp_denorm_src 0
		.amdhsa_exception_fp_ieee_div_zero 0
		.amdhsa_exception_fp_ieee_overflow 0
		.amdhsa_exception_fp_ieee_underflow 0
		.amdhsa_exception_fp_ieee_inexact 0
		.amdhsa_exception_int_div_zero 0
	.end_amdhsa_kernel
	.section	.text._ZL25rocblas_symm_scale_kernelILi128ELi8EPK19rocblas_complex_numIfEPKPS1_EviiT1_T2_llli,"axG",@progbits,_ZL25rocblas_symm_scale_kernelILi128ELi8EPK19rocblas_complex_numIfEPKPS1_EviiT1_T2_llli,comdat
.Lfunc_end44:
	.size	_ZL25rocblas_symm_scale_kernelILi128ELi8EPK19rocblas_complex_numIfEPKPS1_EviiT1_T2_llli, .Lfunc_end44-_ZL25rocblas_symm_scale_kernelILi128ELi8EPK19rocblas_complex_numIfEPKPS1_EviiT1_T2_llli
                                        ; -- End function
	.set _ZL25rocblas_symm_scale_kernelILi128ELi8EPK19rocblas_complex_numIfEPKPS1_EviiT1_T2_llli.num_vgpr, 12
	.set _ZL25rocblas_symm_scale_kernelILi128ELi8EPK19rocblas_complex_numIfEPKPS1_EviiT1_T2_llli.num_agpr, 0
	.set _ZL25rocblas_symm_scale_kernelILi128ELi8EPK19rocblas_complex_numIfEPKPS1_EviiT1_T2_llli.numbered_sgpr, 21
	.set _ZL25rocblas_symm_scale_kernelILi128ELi8EPK19rocblas_complex_numIfEPKPS1_EviiT1_T2_llli.num_named_barrier, 0
	.set _ZL25rocblas_symm_scale_kernelILi128ELi8EPK19rocblas_complex_numIfEPKPS1_EviiT1_T2_llli.private_seg_size, 0
	.set _ZL25rocblas_symm_scale_kernelILi128ELi8EPK19rocblas_complex_numIfEPKPS1_EviiT1_T2_llli.uses_vcc, 1
	.set _ZL25rocblas_symm_scale_kernelILi128ELi8EPK19rocblas_complex_numIfEPKPS1_EviiT1_T2_llli.uses_flat_scratch, 0
	.set _ZL25rocblas_symm_scale_kernelILi128ELi8EPK19rocblas_complex_numIfEPKPS1_EviiT1_T2_llli.has_dyn_sized_stack, 0
	.set _ZL25rocblas_symm_scale_kernelILi128ELi8EPK19rocblas_complex_numIfEPKPS1_EviiT1_T2_llli.has_recursion, 0
	.set _ZL25rocblas_symm_scale_kernelILi128ELi8EPK19rocblas_complex_numIfEPKPS1_EviiT1_T2_llli.has_indirect_call, 0
	.section	.AMDGPU.csdata,"",@progbits
; Kernel info:
; codeLenInByte = 564
; TotalNumSgprs: 23
; NumVgprs: 12
; ScratchSize: 0
; MemoryBound: 0
; FloatMode: 240
; IeeeMode: 1
; LDSByteSize: 0 bytes/workgroup (compile time only)
; SGPRBlocks: 0
; VGPRBlocks: 1
; NumSGPRsForWavesPerEU: 23
; NumVGPRsForWavesPerEU: 12
; Occupancy: 16
; WaveLimiterHint : 0
; COMPUTE_PGM_RSRC2:SCRATCH_EN: 0
; COMPUTE_PGM_RSRC2:USER_SGPR: 2
; COMPUTE_PGM_RSRC2:TRAP_HANDLER: 0
; COMPUTE_PGM_RSRC2:TGID_X_EN: 1
; COMPUTE_PGM_RSRC2:TGID_Y_EN: 1
; COMPUTE_PGM_RSRC2:TGID_Z_EN: 1
; COMPUTE_PGM_RSRC2:TIDIG_COMP_CNT: 1
	.section	.text._ZL24rocblas_symm_hemm_kernelILb0ELb0ELi32EPK19rocblas_complex_numIfEPKS3_PKPS1_EvbiiT2_T3_lllSA_lllT4_llli,"axG",@progbits,_ZL24rocblas_symm_hemm_kernelILb0ELb0ELi32EPK19rocblas_complex_numIfEPKS3_PKPS1_EvbiiT2_T3_lllSA_lllT4_llli,comdat
	.globl	_ZL24rocblas_symm_hemm_kernelILb0ELb0ELi32EPK19rocblas_complex_numIfEPKS3_PKPS1_EvbiiT2_T3_lllSA_lllT4_llli ; -- Begin function _ZL24rocblas_symm_hemm_kernelILb0ELb0ELi32EPK19rocblas_complex_numIfEPKS3_PKPS1_EvbiiT2_T3_lllSA_lllT4_llli
	.p2align	8
	.type	_ZL24rocblas_symm_hemm_kernelILb0ELb0ELi32EPK19rocblas_complex_numIfEPKS3_PKPS1_EvbiiT2_T3_lllSA_lllT4_llli,@function
_ZL24rocblas_symm_hemm_kernelILb0ELb0ELi32EPK19rocblas_complex_numIfEPKS3_PKPS1_EvbiiT2_T3_lllSA_lllT4_llli: ; @_ZL24rocblas_symm_hemm_kernelILb0ELb0ELi32EPK19rocblas_complex_numIfEPKS3_PKPS1_EvbiiT2_T3_lllSA_lllT4_llli
; %bb.0:
	s_load_b256 s[4:11], s[0:1], 0x10
	s_wait_kmcnt 0x0
	s_load_b64 s[4:5], s[4:5], 0x0
	s_wait_kmcnt 0x0
	s_cmp_eq_f32 s4, 0
	s_cselect_b32 s2, -1, 0
	s_cmp_eq_f32 s5, 0
	s_cselect_b32 s3, -1, 0
	s_delay_alu instid0(SALU_CYCLE_1) | instskip(NEXT) | instid1(SALU_CYCLE_1)
	s_and_b32 s2, s2, s3
	s_and_b32 vcc_lo, exec_lo, s2
	s_cbranch_vccnz .LBB45_16
; %bb.1:
	s_load_b32 s3, s[0:1], 0x78
	s_lshr_b32 s24, ttmp7, 16
	s_wait_kmcnt 0x0
	s_cmp_ge_u32 s24, s3
	s_cbranch_scc1 .LBB45_16
; %bb.2:
	s_clause 0x4
	s_load_b96 s[20:22], s[0:1], 0x0
	s_load_b128 s[12:15], s[0:1], 0x38
	s_load_b64 s[26:27], s[0:1], 0x68
	s_load_b64 s[28:29], s[0:1], 0x48
	s_load_b128 s[16:19], s[0:1], 0x58
	v_dual_mov_b32 v14, 0 :: v_dual_and_b32 v11, 0x3ff, v0
	v_bfe_u32 v12, v0, 10, 10
	s_add_nc_u64 s[30:31], s[0:1], 0x80
	s_mov_b32 s25, 0
	s_delay_alu instid0(VALU_DEP_2) | instskip(SKIP_2) | instid1(VALU_DEP_1)
	v_lshlrev_b32_e32 v13, 8, v11
	v_lshl_add_u32 v0, ttmp9, 5, v11
	v_lshlrev_b32_e32 v1, 3, v12
	v_add_nc_u32_e32 v15, v13, v1
	v_or_b32_e32 v16, 0x2000, v1
	s_delay_alu instid0(VALU_DEP_4) | instskip(SKIP_2) | instid1(VALU_DEP_2)
	v_ashrrev_i32_e32 v1, 31, v0
	s_wait_kmcnt 0x0
	s_bitcmp1_b32 s20, 0
	v_add_nc_u32_e32 v17, v16, v13
	s_cselect_b32 s0, -1, 0
	s_add_co_i32 s1, s22, -1
	s_wait_alu 0xfffe
	s_and_b32 s20, ttmp7, 0xffff
	s_ashr_i32 s2, s1, 31
	v_lshlrev_b64_e32 v[1:2], 3, v[0:1]
	s_lshr_b32 s2, s2, 27
	v_add_nc_u32_e32 v18, 0x800, v16
	s_add_co_i32 s1, s1, s2
	v_add_nc_u32_e32 v19, 0x1000, v16
	s_wait_alu 0xfffe
	s_ashr_i32 s23, s1, 5
	v_cmp_gt_i32_e64 s1, s21, v0
	s_cmp_le_i32 s20, s23
	v_add_nc_u32_e32 v20, 0x1800, v16
	s_cselect_b32 s33, -1, 0
	s_cmp_gt_i32 s21, 0
	s_cselect_b32 s34, -1, 0
	s_lshl_b64 s[8:9], s[8:9], 3
	s_lshl_b64 s[14:15], s[14:15], 3
	;; [unrolled: 1-line block ×3, first 2 shown]
	s_branch .LBB45_4
.LBB45_3:                               ;   in Loop: Header=BB45_4 Depth=1
	s_add_co_i32 s24, s24, 0x10000
	s_delay_alu instid0(SALU_CYCLE_1)
	s_cmp_lt_u32 s24, s3
	s_cbranch_scc0 .LBB45_16
.LBB45_4:                               ; =>This Loop Header: Depth=1
                                        ;     Child Loop BB45_7 Depth 2
                                        ;       Child Loop BB45_10 Depth 3
	s_and_not1_b32 vcc_lo, exec_lo, s33
	s_wait_alu 0xfffe
	s_cbranch_vccnz .LBB45_3
; %bb.5:                                ;   in Loop: Header=BB45_4 Depth=1
	s_lshl_b64 s[36:37], s[24:25], 3
	s_load_b32 s35, s[30:31], 0x4
	s_add_nc_u64 s[38:39], s[6:7], s[36:37]
	global_load_b64 v[3:4], v14, s[38:39]
	s_add_nc_u64 s[38:39], s[16:17], s[36:37]
	s_add_nc_u64 s[36:37], s[12:13], s[36:37]
	s_clause 0x1
	global_load_b64 v[5:6], v14, s[38:39]
	global_load_b64 v[7:8], v14, s[36:37]
	s_mov_b32 s36, s20
	s_wait_loadcnt 0x2
	v_add_co_u32 v21, vcc_lo, v3, s8
	s_wait_alu 0xfffd
	v_add_co_ci_u32_e64 v22, null, s9, v4, vcc_lo
	s_wait_loadcnt 0x1
	v_add_co_u32 v3, vcc_lo, v5, s18
	s_wait_alu 0xfffd
	v_add_co_ci_u32_e64 v4, null, s19, v6, vcc_lo
	;; [unrolled: 4-line block ×3, first 2 shown]
	v_add_co_u32 v25, vcc_lo, v3, v1
	s_wait_alu 0xfffd
	v_add_co_ci_u32_e64 v26, null, v4, v2, vcc_lo
	s_branch .LBB45_7
.LBB45_6:                               ;   in Loop: Header=BB45_7 Depth=2
	s_wait_kmcnt 0x0
	s_add_co_i32 s36, s36, s35
	s_wait_alu 0xfffe
	s_cmp_gt_i32 s36, s23
	s_cbranch_scc1 .LBB45_3
.LBB45_7:                               ;   Parent Loop BB45_4 Depth=1
                                        ; =>  This Loop Header: Depth=2
                                        ;       Child Loop BB45_10 Depth 3
	s_and_not1_b32 vcc_lo, exec_lo, s34
	s_wait_alu 0xfffe
	s_cbranch_vccnz .LBB45_6
; %bb.8:                                ;   in Loop: Header=BB45_7 Depth=2
	v_lshl_add_u32 v7, s36, 5, v12
	s_mov_b32 s38, 0
	s_delay_alu instid0(VALU_DEP_1) | instskip(SKIP_3) | instid1(VALU_DEP_4)
	v_ashrrev_i32_e32 v8, 31, v7
	v_mul_lo_u32 v9, s29, v7
	v_mad_co_u64_u32 v[3:4], null, s28, v7, 0
	v_mul_lo_u32 v27, s27, v7
	v_mul_lo_u32 v10, s28, v8
	v_mad_co_u64_u32 v[5:6], null, s26, v7, 0
	v_mul_lo_u32 v8, s26, v8
	v_cmp_gt_i32_e32 vcc_lo, s22, v7
	s_delay_alu instid0(VALU_DEP_4) | instskip(SKIP_1) | instid1(VALU_DEP_3)
	v_add3_u32 v4, v4, v10, v9
	s_and_b32 s37, s1, vcc_lo
	v_add3_u32 v6, v6, v8, v27
	s_delay_alu instid0(VALU_DEP_2) | instskip(NEXT) | instid1(VALU_DEP_2)
	v_lshlrev_b64_e32 v[3:4], 3, v[3:4]
	v_lshlrev_b64_e32 v[5:6], 3, v[5:6]
	s_delay_alu instid0(VALU_DEP_2) | instskip(SKIP_1) | instid1(VALU_DEP_3)
	v_add_co_u32 v27, s2, v23, v3
	s_wait_alu 0xf1ff
	v_add_co_ci_u32_e64 v28, null, v24, v4, s2
	s_delay_alu instid0(VALU_DEP_3)
	v_add_co_u32 v3, s2, v25, v5
	s_wait_alu 0xf1ff
	v_add_co_ci_u32_e64 v4, null, v26, v6, s2
	s_branch .LBB45_10
.LBB45_9:                               ;   in Loop: Header=BB45_10 Depth=3
	s_wait_alu 0xfffe
	s_or_b32 exec_lo, exec_lo, s2
	s_add_co_i32 s38, s38, 32
	s_wait_storecnt 0x0
	s_wait_loadcnt_dscnt 0x0
	s_wait_alu 0xfffe
	s_cmp_ge_i32 s38, s21
	s_barrier_signal -1
	s_barrier_wait -1
	global_inv scope:SCOPE_SE
	s_cbranch_scc1 .LBB45_6
.LBB45_10:                              ;   Parent Loop BB45_4 Depth=1
                                        ;     Parent Loop BB45_7 Depth=2
                                        ; =>    This Inner Loop Header: Depth=3
	s_wait_alu 0xfffe
	v_add_nc_u32_e32 v5, s38, v12
	s_delay_alu instid0(VALU_DEP_1) | instskip(SKIP_1) | instid1(VALU_DEP_1)
	v_cndmask_b32_e64 v6, v5, v0, s0
	v_cndmask_b32_e64 v7, v0, v5, s0
	v_cmp_gt_i32_e64 s2, v6, v7
	v_mov_b32_e32 v7, 0
	s_wait_alu 0xf1ff
	s_delay_alu instid0(VALU_DEP_2) | instskip(SKIP_2) | instid1(VALU_DEP_2)
	v_cndmask_b32_e64 v6, v0, v5, s2
	v_cndmask_b32_e64 v9, v5, v0, s2
	v_mov_b32_e32 v5, 0
	v_max_i32_e32 v8, v6, v9
	s_delay_alu instid0(VALU_DEP_1)
	v_cmp_gt_i32_e64 s2, s21, v8
	v_mov_b32_e32 v8, 0
	s_and_saveexec_b32 s39, s2
	s_cbranch_execz .LBB45_12
; %bb.11:                               ;   in Loop: Header=BB45_10 Depth=3
	v_ashrrev_i32_e32 v7, 31, v9
	v_mul_lo_u32 v10, s11, v9
	v_mad_co_u64_u32 v[8:9], null, s10, v9, 0
	s_delay_alu instid0(VALU_DEP_3) | instskip(NEXT) | instid1(VALU_DEP_1)
	v_mul_lo_u32 v7, s10, v7
	v_add3_u32 v9, v9, v7, v10
	v_ashrrev_i32_e32 v7, 31, v6
	s_delay_alu instid0(VALU_DEP_2) | instskip(NEXT) | instid1(VALU_DEP_2)
	v_lshlrev_b64_e32 v[8:9], 3, v[8:9]
	v_lshlrev_b64_e32 v[6:7], 3, v[6:7]
	s_delay_alu instid0(VALU_DEP_2) | instskip(SKIP_1) | instid1(VALU_DEP_3)
	v_add_co_u32 v8, s2, v21, v8
	s_wait_alu 0xf1ff
	v_add_co_ci_u32_e64 v9, null, v22, v9, s2
	s_delay_alu instid0(VALU_DEP_2) | instskip(SKIP_1) | instid1(VALU_DEP_2)
	v_add_co_u32 v6, s2, v8, v6
	s_wait_alu 0xf1ff
	v_add_co_ci_u32_e64 v7, null, v9, v7, s2
	flat_load_b64 v[7:8], v[6:7]
.LBB45_12:                              ;   in Loop: Header=BB45_10 Depth=3
	s_wait_alu 0xfffe
	s_or_b32 exec_lo, exec_lo, s39
	v_dual_mov_b32 v6, 0 :: v_dual_add_nc_u32 v9, s38, v11
	s_wait_loadcnt_dscnt 0x0
	ds_store_b64 v15, v[7:8]
	v_cmp_gt_i32_e64 s2, s21, v9
	s_and_b32 s2, s2, vcc_lo
	s_wait_alu 0xfffe
	s_and_saveexec_b32 s39, s2
	s_cbranch_execz .LBB45_14
; %bb.13:                               ;   in Loop: Header=BB45_10 Depth=3
	v_ashrrev_i32_e32 v10, 31, v9
	s_delay_alu instid0(VALU_DEP_1) | instskip(NEXT) | instid1(VALU_DEP_1)
	v_lshlrev_b64_e32 v[5:6], 3, v[9:10]
	v_add_co_u32 v5, s2, v27, v5
	s_wait_alu 0xf1ff
	s_delay_alu instid0(VALU_DEP_2)
	v_add_co_ci_u32_e64 v6, null, v28, v6, s2
	flat_load_b64 v[5:6], v[5:6]
.LBB45_14:                              ;   in Loop: Header=BB45_10 Depth=3
	s_wait_alu 0xfffe
	s_or_b32 exec_lo, exec_lo, s39
	s_wait_loadcnt_dscnt 0x0
	ds_store_b64 v17, v[5:6]
	s_wait_dscnt 0x0
	s_barrier_signal -1
	s_barrier_wait -1
	global_inv scope:SCOPE_SE
	s_and_saveexec_b32 s2, s37
	s_cbranch_execz .LBB45_9
; %bb.15:                               ;   in Loop: Header=BB45_10 Depth=3
	flat_load_b64 v[5:6], v[3:4]
	ds_load_2addr_b64 v[7:10], v16 offset1:32
	ds_load_b128 v[29:32], v13
	ds_load_b128 v[33:36], v13 offset:16
	ds_load_b128 v[37:40], v13 offset:32
	ds_load_b128 v[41:44], v13 offset:48
	ds_load_2addr_b64 v[45:48], v16 offset0:64 offset1:96
	ds_load_2addr_b64 v[49:52], v16 offset0:128 offset1:160
	ds_load_2addr_b64 v[53:56], v16 offset0:192 offset1:224
	ds_load_2addr_b64 v[57:60], v18 offset1:32
	ds_load_b128 v[61:64], v13 offset:64
	ds_load_b128 v[65:68], v13 offset:80
	ds_load_2addr_b64 v[69:72], v18 offset0:64 offset1:96
	ds_load_2addr_b64 v[73:76], v18 offset0:128 offset1:160
	ds_load_b128 v[77:80], v13 offset:96
	ds_load_b128 v[81:84], v13 offset:112
	ds_load_2addr_b64 v[85:88], v18 offset0:192 offset1:224
	ds_load_2addr_b64 v[89:92], v19 offset1:32
	ds_load_b128 v[93:96], v13 offset:128
	ds_load_b128 v[97:100], v13 offset:144
	ds_load_2addr_b64 v[101:104], v19 offset0:64 offset1:96
	ds_load_2addr_b64 v[105:108], v19 offset0:128 offset1:160
	ds_load_b128 v[109:112], v13 offset:160
	ds_load_b128 v[113:116], v13 offset:176
	ds_load_2addr_b64 v[117:120], v19 offset0:192 offset1:224
	ds_load_2addr_b64 v[121:124], v20 offset1:32
	s_wait_dscnt 0x17
	v_mul_f32_e32 v125, v8, v30
	v_dual_mul_f32 v126, v7, v30 :: v_dual_mul_f32 v127, v9, v32
	v_mul_f32_e32 v30, v10, v32
	s_wait_dscnt 0x13
	v_mul_f32_e32 v32, v46, v34
	v_mul_f32_e32 v128, v45, v34
	s_wait_dscnt 0x12
	v_dual_mul_f32 v34, v48, v36 :: v_dual_mul_f32 v131, v49, v38
	v_mul_f32_e32 v130, v47, v36
	v_mul_f32_e32 v36, v50, v38
	s_wait_dscnt 0x11
	v_dual_mul_f32 v38, v52, v40 :: v_dual_mul_f32 v137, v53, v42
	v_fma_f32 v129, v9, v31, -v30
	v_dual_fmac_f32 v126, v8, v29 :: v_dual_fmac_f32 v127, v10, v31
	s_delay_alu instid0(VALU_DEP_3)
	v_fma_f32 v136, v51, v39, -v38
	v_mul_f32_e32 v38, v56, v44
	v_dual_mul_f32 v132, v51, v40 :: v_dual_fmac_f32 v137, v54, v41
	v_fmac_f32_e32 v128, v46, v33
	v_fma_f32 v135, v49, v37, -v36
	v_fmac_f32_e32 v131, v50, v37
	v_dual_mul_f32 v37, v54, v42 :: v_dual_mul_f32 v138, v55, v44
	s_wait_dscnt 0xf
	v_mul_f32_e32 v42, v58, v62
	v_fma_f32 v54, v55, v43, -v38
	v_mul_f32_e32 v55, v57, v62
	v_fma_f32 v125, v7, v29, -v125
	v_fma_f32 v134, v47, v35, -v34
	v_fmac_f32_e32 v132, v52, v39
	v_fma_f32 v53, v53, v41, -v37
	v_mul_f32_e32 v41, v60, v64
	v_fma_f32 v57, v57, v61, -v42
	v_fmac_f32_e32 v55, v58, v61
	s_wait_dscnt 0xd
	v_dual_mul_f32 v61, v70, v66 :: v_dual_fmac_f32 v138, v56, v43
	v_mul_f32_e32 v56, v59, v64
	v_mul_f32_e32 v62, v69, v66
	v_add_f32_e32 v42, 0, v125
	v_fma_f32 v58, v59, v63, -v41
	v_mul_f32_e32 v64, v71, v68
	v_fma_f32 v61, v69, v65, -v61
	s_wait_dscnt 0xb
	v_dual_fmac_f32 v62, v70, v65 :: v_dual_mul_f32 v65, v73, v78
	s_wait_dscnt 0x9
	v_dual_fmac_f32 v56, v60, v63 :: v_dual_mul_f32 v69, v86, v82
	v_mul_f32_e32 v63, v72, v68
	v_fma_f32 v133, v45, v33, -v32
	v_fmac_f32_e32 v64, v72, v67
	v_dual_fmac_f32 v130, v48, v35 :: v_dual_add_f32 v43, 0, v126
	s_delay_alu instid0(VALU_DEP_4) | instskip(SKIP_2) | instid1(VALU_DEP_4)
	v_fma_f32 v63, v71, v67, -v63
	v_mul_f32_e32 v67, v76, v80
	v_add_f32_e32 v59, v42, v129
	v_dual_mul_f32 v71, v88, v84 :: v_dual_add_f32 v60, v43, v127
	ds_load_b128 v[7:10], v13 offset:192
	ds_load_b128 v[29:32], v13 offset:208
	ds_load_2addr_b64 v[33:36], v20 offset0:64 offset1:96
	v_add_f32_e32 v59, v59, v133
	ds_load_2addr_b64 v[37:40], v20 offset0:128 offset1:160
	v_fmac_f32_e32 v65, v74, v77
	ds_load_b128 v[41:44], v13 offset:224
	ds_load_b128 v[45:48], v13 offset:240
	ds_load_2addr_b64 v[49:52], v20 offset0:192 offset1:224
	v_dual_add_f32 v59, v59, v134 :: v_dual_add_f32 v60, v60, v128
	s_delay_alu instid0(VALU_DEP_1) | instskip(NEXT) | instid1(VALU_DEP_1)
	v_add_f32_e32 v59, v59, v135
	v_dual_add_f32 v59, v59, v136 :: v_dual_add_f32 v60, v60, v130
	s_delay_alu instid0(VALU_DEP_1) | instskip(SKIP_2) | instid1(VALU_DEP_2)
	v_dual_add_f32 v53, v59, v53 :: v_dual_add_f32 v60, v60, v131
	s_wait_dscnt 0xe
	v_mul_f32_e32 v59, v89, v94
	v_add_f32_e32 v53, v53, v54
	s_wait_dscnt 0xc
	v_mul_f32_e32 v54, v102, v98
	s_delay_alu instid0(VALU_DEP_3) | instskip(NEXT) | instid1(VALU_DEP_3)
	v_fmac_f32_e32 v59, v90, v93
	v_add_f32_e32 v53, v53, v57
	v_mul_f32_e32 v57, v103, v100
	v_add_f32_e32 v60, v60, v132
	v_mul_f32_e32 v68, v75, v80
	s_delay_alu instid0(VALU_DEP_4) | instskip(SKIP_1) | instid1(VALU_DEP_4)
	v_dual_mul_f32 v80, v92, v96 :: v_dual_add_f32 v53, v53, v58
	v_mul_f32_e32 v72, v87, v84
	v_add_f32_e32 v60, v60, v137
	v_fmac_f32_e32 v57, v104, v99
	s_delay_alu instid0(VALU_DEP_4)
	v_add_f32_e32 v53, v53, v61
	s_wait_dscnt 0x8
	v_mul_f32_e32 v61, v117, v114
	v_add_f32_e32 v60, v60, v138
	v_mul_f32_e32 v66, v74, v78
	v_fmac_f32_e32 v72, v88, v83
	v_add_f32_e32 v53, v53, v63
	v_mul_f32_e32 v63, v120, v116
	v_dual_add_f32 v55, v60, v55 :: v_dual_mul_f32 v70, v85, v82
	v_mul_f32_e32 v82, v91, v96
	v_mul_f32_e32 v96, v105, v110
	v_fma_f32 v54, v101, v97, -v54
	s_delay_alu instid0(VALU_DEP_4) | instskip(NEXT) | instid1(VALU_DEP_1)
	v_dual_add_f32 v55, v55, v56 :: v_dual_fmac_f32 v70, v86, v81
	v_dual_fmac_f32 v96, v106, v109 :: v_dual_add_f32 v55, v55, v62
	v_fma_f32 v62, v73, v77, -v66
	v_mul_f32_e32 v78, v90, v94
	v_mul_f32_e32 v94, v104, v100
	v_fma_f32 v66, v87, v83, -v71
	v_add_f32_e32 v55, v55, v64
	v_fma_f32 v64, v75, v79, -v67
	v_add_f32_e32 v53, v53, v62
	v_mul_f32_e32 v60, v106, v110
	v_fma_f32 v67, v91, v95, -v80
	v_add_f32_e32 v55, v55, v65
	v_fma_f32 v65, v85, v81, -v69
	v_add_f32_e32 v53, v53, v64
	s_delay_alu instid0(VALU_DEP_1) | instskip(SKIP_2) | instid1(VALU_DEP_3)
	v_dual_mul_f32 v58, v107, v112 :: v_dual_add_f32 v53, v53, v65
	v_fmac_f32_e32 v68, v76, v79
	v_fma_f32 v65, v89, v93, -v78
	v_add_f32_e32 v53, v53, v66
	s_delay_alu instid0(VALU_DEP_3) | instskip(SKIP_1) | instid1(VALU_DEP_3)
	v_dual_mul_f32 v84, v101, v98 :: v_dual_add_f32 v55, v55, v68
	v_mul_f32_e32 v56, v108, v112
	v_dual_mul_f32 v62, v119, v116 :: v_dual_add_f32 v53, v53, v65
	s_wait_dscnt 0x6
	v_mul_f32_e32 v66, v124, v10
	v_add_f32_e32 v55, v55, v70
	v_mul_f32_e32 v98, v118, v114
	v_fma_f32 v65, v103, v99, -v94
	v_dual_add_f32 v53, v53, v67 :: v_dual_fmac_f32 v84, v102, v97
	s_delay_alu instid0(VALU_DEP_4) | instskip(SKIP_2) | instid1(VALU_DEP_4)
	v_add_f32_e32 v55, v55, v72
	v_fma_f32 v56, v107, v111, -v56
	v_dual_fmac_f32 v61, v118, v113 :: v_dual_fmac_f32 v62, v120, v115
	v_dual_add_f32 v53, v53, v54 :: v_dual_fmac_f32 v82, v92, v95
	s_delay_alu instid0(VALU_DEP_4) | instskip(SKIP_1) | instid1(VALU_DEP_3)
	v_dual_add_f32 v55, v55, v59 :: v_dual_mul_f32 v64, v122, v8
	v_mul_f32_e32 v8, v121, v8
	v_dual_mul_f32 v10, v123, v10 :: v_dual_add_f32 v53, v53, v65
	s_delay_alu instid0(VALU_DEP_3)
	v_add_f32_e32 v55, v55, v82
	s_wait_dscnt 0x4
	v_mul_f32_e32 v59, v34, v30
	v_fma_f32 v54, v105, v109, -v60
	v_fmac_f32_e32 v8, v122, v7
	v_dual_fmac_f32 v10, v124, v9 :: v_dual_add_f32 v55, v55, v84
	v_mul_f32_e32 v30, v33, v30
	s_delay_alu instid0(VALU_DEP_4)
	v_add_f32_e32 v53, v53, v54
	v_fma_f32 v54, v117, v113, -v98
	v_fma_f32 v33, v33, v29, -v59
	v_add_f32_e32 v55, v55, v57
	v_mul_f32_e32 v57, v36, v32
	v_fmac_f32_e32 v58, v108, v111
	v_mul_f32_e32 v32, v35, v32
	s_wait_dscnt 0x2
	v_dual_add_f32 v53, v53, v56 :: v_dual_mul_f32 v56, v38, v42
	v_dual_add_f32 v55, v55, v96 :: v_dual_mul_f32 v42, v37, v42
	s_delay_alu instid0(VALU_DEP_2) | instskip(SKIP_1) | instid1(VALU_DEP_3)
	v_dual_fmac_f32 v30, v34, v29 :: v_dual_add_f32 v53, v53, v54
	v_fma_f32 v54, v121, v7, -v64
	v_add_f32_e32 v55, v55, v58
	v_fma_f32 v58, v119, v115, -v63
	v_fmac_f32_e32 v32, v36, v31
	v_fma_f32 v29, v35, v31, -v57
	v_fma_f32 v31, v37, v41, -v56
	v_add_f32_e32 v55, v55, v61
	v_add_f32_e32 v53, v53, v58
	v_fma_f32 v58, v123, v9, -v66
	v_dual_mul_f32 v9, v39, v44 :: v_dual_fmac_f32 v42, v38, v41
	s_delay_alu instid0(VALU_DEP_4) | instskip(SKIP_1) | instid1(VALU_DEP_2)
	v_add_f32_e32 v7, v55, v62
	v_mul_f32_e32 v55, v40, v44
	v_dual_add_f32 v7, v7, v8 :: v_dual_add_f32 v8, v53, v54
	s_delay_alu instid0(VALU_DEP_1) | instskip(NEXT) | instid1(VALU_DEP_2)
	v_add_f32_e32 v8, v8, v58
	v_add_f32_e32 v7, v7, v10
	s_wait_dscnt 0x0
	v_dual_mul_f32 v10, v50, v46 :: v_dual_fmac_f32 v9, v40, v43
	s_delay_alu instid0(VALU_DEP_2) | instskip(SKIP_1) | instid1(VALU_DEP_3)
	v_dual_add_f32 v8, v8, v33 :: v_dual_add_f32 v7, v7, v30
	v_mul_f32_e32 v30, v49, v46
	v_fma_f32 v10, v49, v45, -v10
	s_delay_alu instid0(VALU_DEP_3) | instskip(SKIP_1) | instid1(VALU_DEP_4)
	v_dual_add_f32 v7, v7, v32 :: v_dual_add_f32 v8, v8, v29
	v_fma_f32 v32, v39, v43, -v55
	v_dual_mul_f32 v29, v52, v48 :: v_dual_fmac_f32 v30, v50, v45
	s_delay_alu instid0(VALU_DEP_3) | instskip(SKIP_1) | instid1(VALU_DEP_2)
	v_dual_add_f32 v7, v7, v42 :: v_dual_add_f32 v8, v8, v31
	v_mul_f32_e32 v31, v51, v48
	v_dual_add_f32 v7, v7, v9 :: v_dual_add_f32 v8, v8, v32
	s_delay_alu instid0(VALU_DEP_4) | instskip(NEXT) | instid1(VALU_DEP_3)
	v_fma_f32 v9, v51, v47, -v29
	v_fmac_f32_e32 v31, v52, v47
	s_delay_alu instid0(VALU_DEP_3) | instskip(NEXT) | instid1(VALU_DEP_1)
	v_add_f32_e32 v8, v8, v10
	v_dual_add_f32 v7, v7, v30 :: v_dual_add_f32 v8, v8, v9
	s_delay_alu instid0(VALU_DEP_1) | instskip(NEXT) | instid1(VALU_DEP_1)
	v_dual_add_f32 v7, v7, v31 :: v_dual_mul_f32 v10, s5, v8
	v_mul_f32_e32 v9, s5, v7
	s_delay_alu instid0(VALU_DEP_1) | instskip(SKIP_1) | instid1(VALU_DEP_1)
	v_fma_f32 v8, s4, v8, -v9
	s_wait_loadcnt 0x0
	v_dual_fmac_f32 v10, s4, v7 :: v_dual_add_f32 v5, v5, v8
	s_delay_alu instid0(VALU_DEP_1)
	v_add_f32_e32 v6, v6, v10
	flat_store_b64 v[3:4], v[5:6]
	s_branch .LBB45_9
.LBB45_16:
	s_endpgm
	.section	.rodata,"a",@progbits
	.p2align	6, 0x0
	.amdhsa_kernel _ZL24rocblas_symm_hemm_kernelILb0ELb0ELi32EPK19rocblas_complex_numIfEPKS3_PKPS1_EvbiiT2_T3_lllSA_lllT4_llli
		.amdhsa_group_segment_fixed_size 16384
		.amdhsa_private_segment_fixed_size 0
		.amdhsa_kernarg_size 384
		.amdhsa_user_sgpr_count 2
		.amdhsa_user_sgpr_dispatch_ptr 0
		.amdhsa_user_sgpr_queue_ptr 0
		.amdhsa_user_sgpr_kernarg_segment_ptr 1
		.amdhsa_user_sgpr_dispatch_id 0
		.amdhsa_user_sgpr_private_segment_size 0
		.amdhsa_wavefront_size32 1
		.amdhsa_uses_dynamic_stack 0
		.amdhsa_enable_private_segment 0
		.amdhsa_system_sgpr_workgroup_id_x 1
		.amdhsa_system_sgpr_workgroup_id_y 1
		.amdhsa_system_sgpr_workgroup_id_z 1
		.amdhsa_system_sgpr_workgroup_info 0
		.amdhsa_system_vgpr_workitem_id 1
		.amdhsa_next_free_vgpr 139
		.amdhsa_next_free_sgpr 40
		.amdhsa_reserve_vcc 1
		.amdhsa_float_round_mode_32 0
		.amdhsa_float_round_mode_16_64 0
		.amdhsa_float_denorm_mode_32 3
		.amdhsa_float_denorm_mode_16_64 3
		.amdhsa_fp16_overflow 0
		.amdhsa_workgroup_processor_mode 1
		.amdhsa_memory_ordered 1
		.amdhsa_forward_progress 1
		.amdhsa_inst_pref_size 20
		.amdhsa_round_robin_scheduling 0
		.amdhsa_exception_fp_ieee_invalid_op 0
		.amdhsa_exception_fp_denorm_src 0
		.amdhsa_exception_fp_ieee_div_zero 0
		.amdhsa_exception_fp_ieee_overflow 0
		.amdhsa_exception_fp_ieee_underflow 0
		.amdhsa_exception_fp_ieee_inexact 0
		.amdhsa_exception_int_div_zero 0
	.end_amdhsa_kernel
	.section	.text._ZL24rocblas_symm_hemm_kernelILb0ELb0ELi32EPK19rocblas_complex_numIfEPKS3_PKPS1_EvbiiT2_T3_lllSA_lllT4_llli,"axG",@progbits,_ZL24rocblas_symm_hemm_kernelILb0ELb0ELi32EPK19rocblas_complex_numIfEPKS3_PKPS1_EvbiiT2_T3_lllSA_lllT4_llli,comdat
.Lfunc_end45:
	.size	_ZL24rocblas_symm_hemm_kernelILb0ELb0ELi32EPK19rocblas_complex_numIfEPKS3_PKPS1_EvbiiT2_T3_lllSA_lllT4_llli, .Lfunc_end45-_ZL24rocblas_symm_hemm_kernelILb0ELb0ELi32EPK19rocblas_complex_numIfEPKS3_PKPS1_EvbiiT2_T3_lllSA_lllT4_llli
                                        ; -- End function
	.set _ZL24rocblas_symm_hemm_kernelILb0ELb0ELi32EPK19rocblas_complex_numIfEPKS3_PKPS1_EvbiiT2_T3_lllSA_lllT4_llli.num_vgpr, 139
	.set _ZL24rocblas_symm_hemm_kernelILb0ELb0ELi32EPK19rocblas_complex_numIfEPKS3_PKPS1_EvbiiT2_T3_lllSA_lllT4_llli.num_agpr, 0
	.set _ZL24rocblas_symm_hemm_kernelILb0ELb0ELi32EPK19rocblas_complex_numIfEPKS3_PKPS1_EvbiiT2_T3_lllSA_lllT4_llli.numbered_sgpr, 40
	.set _ZL24rocblas_symm_hemm_kernelILb0ELb0ELi32EPK19rocblas_complex_numIfEPKS3_PKPS1_EvbiiT2_T3_lllSA_lllT4_llli.num_named_barrier, 0
	.set _ZL24rocblas_symm_hemm_kernelILb0ELb0ELi32EPK19rocblas_complex_numIfEPKS3_PKPS1_EvbiiT2_T3_lllSA_lllT4_llli.private_seg_size, 0
	.set _ZL24rocblas_symm_hemm_kernelILb0ELb0ELi32EPK19rocblas_complex_numIfEPKS3_PKPS1_EvbiiT2_T3_lllSA_lllT4_llli.uses_vcc, 1
	.set _ZL24rocblas_symm_hemm_kernelILb0ELb0ELi32EPK19rocblas_complex_numIfEPKS3_PKPS1_EvbiiT2_T3_lllSA_lllT4_llli.uses_flat_scratch, 0
	.set _ZL24rocblas_symm_hemm_kernelILb0ELb0ELi32EPK19rocblas_complex_numIfEPKS3_PKPS1_EvbiiT2_T3_lllSA_lllT4_llli.has_dyn_sized_stack, 0
	.set _ZL24rocblas_symm_hemm_kernelILb0ELb0ELi32EPK19rocblas_complex_numIfEPKS3_PKPS1_EvbiiT2_T3_lllSA_lllT4_llli.has_recursion, 0
	.set _ZL24rocblas_symm_hemm_kernelILb0ELb0ELi32EPK19rocblas_complex_numIfEPKS3_PKPS1_EvbiiT2_T3_lllSA_lllT4_llli.has_indirect_call, 0
	.section	.AMDGPU.csdata,"",@progbits
; Kernel info:
; codeLenInByte = 2496
; TotalNumSgprs: 42
; NumVgprs: 139
; ScratchSize: 0
; MemoryBound: 0
; FloatMode: 240
; IeeeMode: 1
; LDSByteSize: 16384 bytes/workgroup (compile time only)
; SGPRBlocks: 0
; VGPRBlocks: 17
; NumSGPRsForWavesPerEU: 42
; NumVGPRsForWavesPerEU: 139
; Occupancy: 10
; WaveLimiterHint : 1
; COMPUTE_PGM_RSRC2:SCRATCH_EN: 0
; COMPUTE_PGM_RSRC2:USER_SGPR: 2
; COMPUTE_PGM_RSRC2:TRAP_HANDLER: 0
; COMPUTE_PGM_RSRC2:TGID_X_EN: 1
; COMPUTE_PGM_RSRC2:TGID_Y_EN: 1
; COMPUTE_PGM_RSRC2:TGID_Z_EN: 1
; COMPUTE_PGM_RSRC2:TIDIG_COMP_CNT: 1
	.section	.text._ZL24rocblas_symm_hemm_kernelILb0ELb1ELi32EPK19rocblas_complex_numIfEPKS3_PKPS1_EvbiiT2_T3_lllSA_lllT4_llli,"axG",@progbits,_ZL24rocblas_symm_hemm_kernelILb0ELb1ELi32EPK19rocblas_complex_numIfEPKS3_PKPS1_EvbiiT2_T3_lllSA_lllT4_llli,comdat
	.globl	_ZL24rocblas_symm_hemm_kernelILb0ELb1ELi32EPK19rocblas_complex_numIfEPKS3_PKPS1_EvbiiT2_T3_lllSA_lllT4_llli ; -- Begin function _ZL24rocblas_symm_hemm_kernelILb0ELb1ELi32EPK19rocblas_complex_numIfEPKS3_PKPS1_EvbiiT2_T3_lllSA_lllT4_llli
	.p2align	8
	.type	_ZL24rocblas_symm_hemm_kernelILb0ELb1ELi32EPK19rocblas_complex_numIfEPKS3_PKPS1_EvbiiT2_T3_lllSA_lllT4_llli,@function
_ZL24rocblas_symm_hemm_kernelILb0ELb1ELi32EPK19rocblas_complex_numIfEPKS3_PKPS1_EvbiiT2_T3_lllSA_lllT4_llli: ; @_ZL24rocblas_symm_hemm_kernelILb0ELb1ELi32EPK19rocblas_complex_numIfEPKS3_PKPS1_EvbiiT2_T3_lllSA_lllT4_llli
; %bb.0:
	s_load_b256 s[4:11], s[0:1], 0x10
	s_wait_kmcnt 0x0
	s_load_b64 s[4:5], s[4:5], 0x0
	s_wait_kmcnt 0x0
	s_cmp_eq_f32 s4, 0
	s_cselect_b32 s2, -1, 0
	s_cmp_eq_f32 s5, 0
	s_cselect_b32 s3, -1, 0
	s_delay_alu instid0(SALU_CYCLE_1) | instskip(NEXT) | instid1(SALU_CYCLE_1)
	s_and_b32 s2, s2, s3
	s_and_b32 vcc_lo, exec_lo, s2
	s_cbranch_vccnz .LBB46_16
; %bb.1:
	s_load_b32 s3, s[0:1], 0x78
	s_lshr_b32 s24, ttmp7, 16
	s_wait_kmcnt 0x0
	s_cmp_ge_u32 s24, s3
	s_cbranch_scc1 .LBB46_16
; %bb.2:
	s_clause 0x4
	s_load_b96 s[20:22], s[0:1], 0x0
	s_load_b128 s[12:15], s[0:1], 0x38
	s_load_b64 s[26:27], s[0:1], 0x68
	s_load_b64 s[28:29], s[0:1], 0x48
	s_load_b128 s[16:19], s[0:1], 0x58
	v_dual_mov_b32 v13, 0 :: v_dual_and_b32 v10, 0x3ff, v0
	v_bfe_u32 v11, v0, 10, 10
	s_add_nc_u64 s[30:31], s[0:1], 0x80
	s_mov_b32 s25, 0
	s_delay_alu instid0(VALU_DEP_2) | instskip(SKIP_2) | instid1(VALU_DEP_3)
	v_lshl_add_u32 v2, ttmp9, 5, v10
	v_lshlrev_b32_e32 v12, 8, v10
	v_lshlrev_b32_e32 v0, 3, v11
	v_ashrrev_i32_e32 v3, 31, v2
	s_delay_alu instid0(VALU_DEP_2) | instskip(NEXT) | instid1(VALU_DEP_4)
	v_or_b32_e32 v14, 0x2000, v0
	v_add_nc_u32_e32 v15, v12, v0
	s_delay_alu instid0(VALU_DEP_3)
	v_lshlrev_b64_e32 v[0:1], 3, v[2:3]
	s_wait_kmcnt 0x0
	s_bitcmp1_b32 s20, 0
	v_add_nc_u32_e32 v16, v14, v12
	s_cselect_b32 s0, -1, 0
	s_add_co_i32 s1, s22, -1
	s_wait_alu 0xfffe
	s_and_b32 s20, ttmp7, 0xffff
	s_ashr_i32 s2, s1, 31
	v_add_nc_u32_e32 v17, 0x800, v14
	s_lshr_b32 s2, s2, 27
	v_add_nc_u32_e32 v18, 0x1000, v14
	s_add_co_i32 s1, s1, s2
	v_add_nc_u32_e32 v19, 0x1800, v14
	s_wait_alu 0xfffe
	s_ashr_i32 s23, s1, 5
	v_cmp_gt_i32_e64 s1, s21, v2
	s_cmp_le_i32 s20, s23
	s_cselect_b32 s21, -1, 0
	s_cmp_gt_i32 s22, 0
	s_cselect_b32 s33, -1, 0
	s_lshl_b64 s[8:9], s[8:9], 3
	s_lshl_b64 s[18:19], s[18:19], 3
	;; [unrolled: 1-line block ×3, first 2 shown]
	s_branch .LBB46_4
.LBB46_3:                               ;   in Loop: Header=BB46_4 Depth=1
	s_add_co_i32 s24, s24, 0x10000
	s_delay_alu instid0(SALU_CYCLE_1)
	s_cmp_lt_u32 s24, s3
	s_cbranch_scc0 .LBB46_16
.LBB46_4:                               ; =>This Loop Header: Depth=1
                                        ;     Child Loop BB46_7 Depth 2
                                        ;       Child Loop BB46_10 Depth 3
	s_wait_alu 0xfffe
	s_and_not1_b32 vcc_lo, exec_lo, s21
	s_wait_alu 0xfffe
	s_cbranch_vccnz .LBB46_3
; %bb.5:                                ;   in Loop: Header=BB46_4 Depth=1
	s_lshl_b64 s[34:35], s[24:25], 3
	s_wait_alu 0xfffe
	s_add_nc_u64 s[36:37], s[6:7], s[34:35]
	global_load_b64 v[2:3], v13, s[36:37]
	s_add_nc_u64 s[36:37], s[12:13], s[34:35]
	s_add_nc_u64 s[34:35], s[16:17], s[34:35]
	s_clause 0x1
	global_load_b64 v[4:5], v13, s[36:37]
	global_load_b64 v[6:7], v13, s[34:35]
	s_load_b32 s34, s[30:31], 0x4
	s_mov_b32 s35, s20
	s_wait_loadcnt 0x2
	v_add_co_u32 v20, vcc_lo, v2, s8
	s_wait_alu 0xfffd
	v_add_co_ci_u32_e64 v21, null, s9, v3, vcc_lo
	s_wait_loadcnt 0x1
	v_add_co_u32 v2, vcc_lo, v4, s14
	s_wait_alu 0xfffd
	v_add_co_ci_u32_e64 v3, null, s15, v5, vcc_lo
	;; [unrolled: 4-line block ×3, first 2 shown]
	v_add_co_u32 v22, vcc_lo, v2, v0
	s_wait_alu 0xfffd
	v_add_co_ci_u32_e64 v23, null, v3, v1, vcc_lo
	v_add_co_u32 v24, vcc_lo, v4, v0
	s_wait_alu 0xfffd
	v_add_co_ci_u32_e64 v25, null, v5, v1, vcc_lo
	s_branch .LBB46_7
.LBB46_6:                               ;   in Loop: Header=BB46_7 Depth=2
	s_wait_kmcnt 0x0
	s_add_co_i32 s35, s35, s34
	s_wait_alu 0xfffe
	s_cmp_gt_i32 s35, s23
	s_cbranch_scc1 .LBB46_3
.LBB46_7:                               ;   Parent Loop BB46_4 Depth=1
                                        ; =>  This Loop Header: Depth=2
                                        ;       Child Loop BB46_10 Depth 3
	s_and_not1_b32 vcc_lo, exec_lo, s33
	s_wait_alu 0xfffe
	s_cbranch_vccnz .LBB46_6
; %bb.8:                                ;   in Loop: Header=BB46_7 Depth=2
	v_lshl_add_u32 v26, s35, 5, v11
	s_mov_b32 s36, 0
	s_delay_alu instid0(VALU_DEP_1) | instskip(SKIP_3) | instid1(VALU_DEP_4)
	v_ashrrev_i32_e32 v4, 31, v26
	v_mul_lo_u32 v5, s27, v26
	v_mad_co_u64_u32 v[2:3], null, s26, v26, 0
	v_cmp_gt_i32_e32 vcc_lo, s22, v26
	v_mul_lo_u32 v4, s26, v4
	s_delay_alu instid0(VALU_DEP_1) | instskip(NEXT) | instid1(VALU_DEP_1)
	v_add3_u32 v3, v3, v4, v5
	v_lshlrev_b64_e32 v[2:3], 3, v[2:3]
	s_delay_alu instid0(VALU_DEP_1) | instskip(SKIP_1) | instid1(VALU_DEP_2)
	v_add_co_u32 v2, s2, v24, v2
	s_wait_alu 0xf1ff
	v_add_co_ci_u32_e64 v3, null, v25, v3, s2
	s_and_b32 s2, s1, vcc_lo
	s_branch .LBB46_10
.LBB46_9:                               ;   in Loop: Header=BB46_10 Depth=3
	s_wait_alu 0xfffe
	s_or_b32 exec_lo, exec_lo, s37
	s_add_co_i32 s36, s36, 32
	s_wait_storecnt 0x0
	s_wait_loadcnt_dscnt 0x0
	s_wait_alu 0xfffe
	s_cmp_ge_i32 s36, s22
	s_barrier_signal -1
	s_barrier_wait -1
	global_inv scope:SCOPE_SE
	s_cbranch_scc1 .LBB46_6
.LBB46_10:                              ;   Parent Loop BB46_4 Depth=1
                                        ;     Parent Loop BB46_7 Depth=2
                                        ; =>    This Inner Loop Header: Depth=3
	s_wait_alu 0xfffe
	v_dual_mov_b32 v4, 0 :: v_dual_add_nc_u32 v5, s36, v11
	v_dual_mov_b32 v6, 0 :: v_dual_mov_b32 v7, 0
	s_delay_alu instid0(VALU_DEP_2) | instskip(SKIP_1) | instid1(SALU_CYCLE_1)
	v_cmp_gt_i32_e32 vcc_lo, s22, v5
	s_and_b32 s38, s1, vcc_lo
	s_and_saveexec_b32 s37, s38
	s_cbranch_execz .LBB46_12
; %bb.11:                               ;   in Loop: Header=BB46_10 Depth=3
	v_ashrrev_i32_e32 v7, 31, v5
	v_mul_lo_u32 v8, s29, v5
	v_mad_co_u64_u32 v[5:6], null, s28, v5, 0
	s_delay_alu instid0(VALU_DEP_3) | instskip(NEXT) | instid1(VALU_DEP_1)
	v_mul_lo_u32 v7, s28, v7
	v_add3_u32 v6, v6, v7, v8
	s_delay_alu instid0(VALU_DEP_1) | instskip(NEXT) | instid1(VALU_DEP_1)
	v_lshlrev_b64_e32 v[5:6], 3, v[5:6]
	v_add_co_u32 v5, vcc_lo, v22, v5
	s_wait_alu 0xfffd
	s_delay_alu instid0(VALU_DEP_2)
	v_add_co_ci_u32_e64 v6, null, v23, v6, vcc_lo
	flat_load_b64 v[6:7], v[5:6]
.LBB46_12:                              ;   in Loop: Header=BB46_10 Depth=3
	s_wait_alu 0xfffe
	s_or_b32 exec_lo, exec_lo, s37
	v_add_nc_u32_e32 v5, s36, v10
	s_wait_loadcnt_dscnt 0x0
	ds_store_b64 v15, v[6:7]
	v_cndmask_b32_e64 v8, v26, v5, s0
	v_cndmask_b32_e64 v9, v5, v26, s0
	s_delay_alu instid0(VALU_DEP_1) | instskip(SKIP_2) | instid1(VALU_DEP_1)
	v_cmp_gt_i32_e32 vcc_lo, v8, v9
	s_wait_alu 0xfffd
	v_dual_cndmask_b32 v8, v5, v26 :: v_dual_cndmask_b32 v9, v26, v5
	v_max_i32_e32 v5, v8, v9
	s_delay_alu instid0(VALU_DEP_1)
	v_cmp_gt_i32_e32 vcc_lo, s22, v5
	v_mov_b32_e32 v5, 0
	s_and_saveexec_b32 s37, vcc_lo
	s_cbranch_execz .LBB46_14
; %bb.13:                               ;   in Loop: Header=BB46_10 Depth=3
	v_ashrrev_i32_e32 v6, 31, v9
	v_mul_lo_u32 v7, s11, v9
	v_mad_co_u64_u32 v[4:5], null, s10, v9, 0
	v_ashrrev_i32_e32 v9, 31, v8
	s_delay_alu instid0(VALU_DEP_4) | instskip(NEXT) | instid1(VALU_DEP_1)
	v_mul_lo_u32 v6, s10, v6
	v_add3_u32 v5, v5, v6, v7
	s_delay_alu instid0(VALU_DEP_3) | instskip(NEXT) | instid1(VALU_DEP_2)
	v_lshlrev_b64_e32 v[6:7], 3, v[8:9]
	v_lshlrev_b64_e32 v[4:5], 3, v[4:5]
	s_delay_alu instid0(VALU_DEP_1) | instskip(SKIP_1) | instid1(VALU_DEP_2)
	v_add_co_u32 v4, vcc_lo, v20, v4
	s_wait_alu 0xfffd
	v_add_co_ci_u32_e64 v5, null, v21, v5, vcc_lo
	s_delay_alu instid0(VALU_DEP_2) | instskip(SKIP_1) | instid1(VALU_DEP_2)
	v_add_co_u32 v4, vcc_lo, v4, v6
	s_wait_alu 0xfffd
	v_add_co_ci_u32_e64 v5, null, v5, v7, vcc_lo
	flat_load_b64 v[4:5], v[4:5]
.LBB46_14:                              ;   in Loop: Header=BB46_10 Depth=3
	s_wait_alu 0xfffe
	s_or_b32 exec_lo, exec_lo, s37
	s_wait_loadcnt_dscnt 0x0
	ds_store_b64 v16, v[4:5]
	s_wait_dscnt 0x0
	s_barrier_signal -1
	s_barrier_wait -1
	global_inv scope:SCOPE_SE
	s_and_saveexec_b32 s37, s2
	s_cbranch_execz .LBB46_9
; %bb.15:                               ;   in Loop: Header=BB46_10 Depth=3
	flat_load_b64 v[4:5], v[2:3]
	ds_load_2addr_b64 v[6:9], v14 offset1:32
	ds_load_b128 v[27:30], v12
	ds_load_b128 v[31:34], v12 offset:16
	ds_load_b128 v[35:38], v12 offset:32
	ds_load_b128 v[39:42], v12 offset:48
	ds_load_2addr_b64 v[43:46], v14 offset0:64 offset1:96
	ds_load_2addr_b64 v[47:50], v14 offset0:128 offset1:160
	;; [unrolled: 1-line block ×3, first 2 shown]
	ds_load_2addr_b64 v[55:58], v17 offset1:32
	ds_load_b128 v[59:62], v12 offset:64
	ds_load_b128 v[63:66], v12 offset:80
	ds_load_2addr_b64 v[67:70], v17 offset0:64 offset1:96
	ds_load_2addr_b64 v[71:74], v17 offset0:128 offset1:160
	ds_load_b128 v[75:78], v12 offset:96
	ds_load_b128 v[79:82], v12 offset:112
	ds_load_2addr_b64 v[83:86], v17 offset0:192 offset1:224
	ds_load_2addr_b64 v[87:90], v18 offset1:32
	ds_load_b128 v[91:94], v12 offset:128
	ds_load_b128 v[95:98], v12 offset:144
	ds_load_2addr_b64 v[99:102], v18 offset0:64 offset1:96
	ds_load_2addr_b64 v[103:106], v18 offset0:128 offset1:160
	ds_load_b128 v[107:110], v12 offset:160
	ds_load_b128 v[111:114], v12 offset:176
	ds_load_2addr_b64 v[115:118], v18 offset0:192 offset1:224
	ds_load_2addr_b64 v[119:122], v19 offset1:32
	s_wait_dscnt 0x17
	v_mul_f32_e32 v123, v7, v28
	v_dual_mul_f32 v124, v6, v28 :: v_dual_mul_f32 v125, v8, v30
	v_mul_f32_e32 v28, v9, v30
	s_wait_dscnt 0x13
	v_mul_f32_e32 v30, v44, v32
	s_wait_dscnt 0x12
	v_dual_mul_f32 v128, v45, v34 :: v_dual_mul_f32 v129, v47, v36
	v_mul_f32_e32 v126, v43, v32
	v_dual_mul_f32 v32, v46, v34 :: v_dual_fmac_f32 v125, v9, v29
	v_fma_f32 v131, v43, v31, -v30
	v_mul_f32_e32 v34, v48, v36
	s_wait_dscnt 0x11
	v_dual_mul_f32 v36, v50, v38 :: v_dual_mul_f32 v135, v51, v40
	v_fma_f32 v127, v8, v29, -v28
	v_mul_f32_e32 v130, v49, v38
	v_fma_f32 v133, v47, v35, -v34
	s_delay_alu instid0(VALU_DEP_4)
	v_fma_f32 v134, v49, v37, -v36
	v_dual_mul_f32 v36, v54, v42 :: v_dual_fmac_f32 v129, v48, v35
	v_fmac_f32_e32 v126, v44, v31
	v_dual_mul_f32 v35, v52, v40 :: v_dual_mul_f32 v136, v53, v42
	s_wait_dscnt 0xf
	v_mul_f32_e32 v40, v56, v60
	v_fmac_f32_e32 v135, v52, v39
	v_fma_f32 v52, v53, v41, -v36
	v_mul_f32_e32 v53, v55, v60
	v_fma_f32 v123, v6, v27, -v123
	v_fmac_f32_e32 v124, v7, v27
	v_fma_f32 v132, v45, v33, -v32
	s_delay_alu instid0(VALU_DEP_4)
	v_dual_fmac_f32 v130, v50, v37 :: v_dual_fmac_f32 v53, v56, v59
	v_fma_f32 v51, v51, v39, -v35
	v_mul_f32_e32 v39, v58, v62
	v_fma_f32 v55, v55, v59, -v40
	s_wait_dscnt 0xd
	v_dual_mul_f32 v59, v68, v64 :: v_dual_fmac_f32 v136, v54, v41
	v_mul_f32_e32 v54, v57, v62
	v_mul_f32_e32 v60, v67, v64
	v_add_f32_e32 v40, 0, v123
	v_fma_f32 v56, v57, v61, -v39
	v_mul_f32_e32 v62, v69, v66
	v_fma_f32 v59, v67, v63, -v59
	s_wait_dscnt 0xb
	v_dual_fmac_f32 v60, v68, v63 :: v_dual_mul_f32 v63, v71, v76
	s_wait_dscnt 0x9
	v_dual_fmac_f32 v54, v58, v61 :: v_dual_mul_f32 v67, v84, v80
	v_mul_f32_e32 v61, v70, v66
	v_fmac_f32_e32 v62, v70, v65
	v_dual_fmac_f32 v128, v46, v33 :: v_dual_add_f32 v41, 0, v124
	ds_load_b128 v[6:9], v12 offset:192
	ds_load_b128 v[27:30], v12 offset:208
	v_fma_f32 v61, v69, v65, -v61
	v_mul_f32_e32 v65, v74, v78
	v_dual_add_f32 v57, v40, v127 :: v_dual_add_f32 v58, v41, v125
	v_mul_f32_e32 v69, v86, v82
	ds_load_2addr_b64 v[31:34], v19 offset0:64 offset1:96
	ds_load_2addr_b64 v[35:38], v19 offset0:128 offset1:160
	v_add_f32_e32 v57, v57, v131
	ds_load_b128 v[39:42], v12 offset:224
	ds_load_b128 v[43:46], v12 offset:240
	ds_load_2addr_b64 v[47:50], v19 offset0:192 offset1:224
	v_fmac_f32_e32 v63, v72, v75
	v_dual_add_f32 v57, v57, v132 :: v_dual_add_f32 v58, v58, v126
	s_delay_alu instid0(VALU_DEP_1) | instskip(NEXT) | instid1(VALU_DEP_1)
	v_add_f32_e32 v57, v57, v133
	v_dual_add_f32 v57, v57, v134 :: v_dual_add_f32 v58, v58, v128
	s_delay_alu instid0(VALU_DEP_1) | instskip(SKIP_2) | instid1(VALU_DEP_2)
	v_dual_add_f32 v51, v57, v51 :: v_dual_add_f32 v58, v58, v129
	s_wait_dscnt 0xe
	v_mul_f32_e32 v57, v87, v92
	v_add_f32_e32 v51, v51, v52
	s_wait_dscnt 0xc
	v_mul_f32_e32 v52, v100, v96
	s_delay_alu instid0(VALU_DEP_3) | instskip(NEXT) | instid1(VALU_DEP_3)
	v_fmac_f32_e32 v57, v88, v91
	v_add_f32_e32 v51, v51, v55
	v_mul_f32_e32 v55, v101, v98
	v_add_f32_e32 v58, v58, v130
	v_mul_f32_e32 v66, v73, v78
	s_delay_alu instid0(VALU_DEP_4) | instskip(SKIP_1) | instid1(VALU_DEP_4)
	v_dual_mul_f32 v78, v90, v94 :: v_dual_add_f32 v51, v51, v56
	v_mul_f32_e32 v70, v85, v82
	v_add_f32_e32 v58, v58, v135
	v_fmac_f32_e32 v55, v102, v97
	s_delay_alu instid0(VALU_DEP_4) | instskip(SKIP_3) | instid1(VALU_DEP_3)
	v_add_f32_e32 v51, v51, v59
	s_wait_dscnt 0x8
	v_mul_f32_e32 v59, v115, v112
	v_add_f32_e32 v58, v58, v136
	v_dual_mul_f32 v64, v72, v76 :: v_dual_add_f32 v51, v51, v61
	v_mul_f32_e32 v61, v118, v114
	s_delay_alu instid0(VALU_DEP_3) | instskip(SKIP_3) | instid1(VALU_DEP_4)
	v_dual_add_f32 v53, v58, v53 :: v_dual_mul_f32 v68, v83, v80
	v_mul_f32_e32 v80, v89, v94
	v_mul_f32_e32 v94, v103, v108
	v_fma_f32 v52, v99, v95, -v52
	v_dual_add_f32 v53, v53, v54 :: v_dual_fmac_f32 v68, v84, v79
	s_delay_alu instid0(VALU_DEP_4) | instskip(NEXT) | instid1(VALU_DEP_2)
	v_fmac_f32_e32 v80, v90, v93
	v_dual_fmac_f32 v94, v104, v107 :: v_dual_add_f32 v53, v53, v60
	v_fma_f32 v60, v71, v75, -v64
	v_mul_f32_e32 v76, v88, v92
	v_mul_f32_e32 v92, v102, v98
	v_fma_f32 v64, v85, v81, -v69
	v_add_f32_e32 v53, v53, v62
	v_fma_f32 v62, v73, v77, -v65
	v_add_f32_e32 v51, v51, v60
	v_mul_f32_e32 v58, v104, v108
	v_fma_f32 v65, v89, v93, -v78
	v_add_f32_e32 v53, v53, v63
	v_fma_f32 v63, v83, v79, -v67
	v_add_f32_e32 v51, v51, v62
	v_mul_f32_e32 v56, v105, v110
	s_wait_dscnt 0x6
	v_mul_f32_e32 v62, v120, v7
	v_mul_f32_e32 v7, v119, v7
	v_dual_add_f32 v51, v51, v63 :: v_dual_mul_f32 v60, v117, v114
	v_fma_f32 v63, v87, v91, -v76
	s_delay_alu instid0(VALU_DEP_3) | instskip(NEXT) | instid1(VALU_DEP_3)
	v_dual_fmac_f32 v56, v106, v109 :: v_dual_fmac_f32 v7, v120, v6
	v_dual_add_f32 v51, v51, v64 :: v_dual_fmac_f32 v70, v86, v81
	s_delay_alu instid0(VALU_DEP_4) | instskip(NEXT) | instid1(VALU_DEP_2)
	v_dual_fmac_f32 v60, v118, v113 :: v_dual_fmac_f32 v59, v116, v111
	v_dual_add_f32 v51, v51, v63 :: v_dual_fmac_f32 v66, v74, v77
	v_mul_f32_e32 v82, v99, v96
	v_fma_f32 v63, v101, v97, -v92
	s_delay_alu instid0(VALU_DEP_3) | instskip(NEXT) | instid1(VALU_DEP_4)
	v_dual_mul_f32 v96, v116, v112 :: v_dual_add_f32 v51, v51, v65
	v_add_f32_e32 v53, v53, v66
	v_mul_f32_e32 v54, v106, v110
	s_delay_alu instid0(VALU_DEP_3) | instskip(NEXT) | instid1(VALU_DEP_3)
	v_dual_fmac_f32 v82, v100, v95 :: v_dual_add_f32 v51, v51, v52
	v_add_f32_e32 v53, v53, v68
	v_fma_f32 v52, v103, v107, -v58
	s_delay_alu instid0(VALU_DEP_4) | instskip(NEXT) | instid1(VALU_DEP_4)
	v_fma_f32 v54, v105, v109, -v54
	v_add_f32_e32 v51, v51, v63
	s_delay_alu instid0(VALU_DEP_4) | instskip(NEXT) | instid1(VALU_DEP_1)
	v_add_f32_e32 v53, v53, v70
	v_add_f32_e32 v53, v53, v57
	s_wait_dscnt 0x4
	v_dual_mul_f32 v57, v32, v28 :: v_dual_mul_f32 v64, v122, v9
	v_dual_mul_f32 v9, v121, v9 :: v_dual_mul_f32 v28, v31, v28
	s_delay_alu instid0(VALU_DEP_3) | instskip(NEXT) | instid1(VALU_DEP_3)
	v_add_f32_e32 v53, v53, v80
	v_fma_f32 v31, v31, v27, -v57
	s_delay_alu instid0(VALU_DEP_3) | instskip(NEXT) | instid1(VALU_DEP_3)
	v_dual_fmac_f32 v9, v122, v8 :: v_dual_fmac_f32 v28, v32, v27
	v_add_f32_e32 v53, v53, v82
	s_delay_alu instid0(VALU_DEP_1) | instskip(SKIP_3) | instid1(VALU_DEP_2)
	v_add_f32_e32 v53, v53, v55
	v_mul_f32_e32 v55, v34, v30
	v_dual_mul_f32 v30, v33, v30 :: v_dual_add_f32 v51, v51, v52
	v_fma_f32 v52, v115, v111, -v96
	v_dual_fmac_f32 v30, v34, v29 :: v_dual_add_f32 v51, v51, v54
	s_wait_dscnt 0x2
	v_dual_mul_f32 v54, v36, v40 :: v_dual_add_f32 v53, v53, v94
	v_mul_f32_e32 v40, v35, v40
	v_fma_f32 v27, v33, v29, -v55
	v_add_f32_e32 v51, v51, v52
	v_fma_f32 v52, v119, v6, -v62
	v_add_f32_e32 v53, v53, v56
	v_fma_f32 v56, v117, v113, -v61
	v_fmac_f32_e32 v40, v36, v39
	v_fma_f32 v29, v35, v39, -v54
	s_delay_alu instid0(VALU_DEP_4) | instskip(NEXT) | instid1(VALU_DEP_4)
	v_add_f32_e32 v53, v53, v59
	v_add_f32_e32 v51, v51, v56
	v_fma_f32 v56, v121, v8, -v64
	v_mul_f32_e32 v8, v37, v42
	s_delay_alu instid0(VALU_DEP_4) | instskip(NEXT) | instid1(VALU_DEP_2)
	v_dual_add_f32 v6, v53, v60 :: v_dual_mul_f32 v53, v38, v42
	v_fmac_f32_e32 v8, v38, v41
	s_delay_alu instid0(VALU_DEP_2) | instskip(NEXT) | instid1(VALU_DEP_1)
	v_add_f32_e32 v6, v6, v7
	v_add_f32_e32 v6, v6, v9
	s_delay_alu instid0(VALU_DEP_1) | instskip(SKIP_3) | instid1(VALU_DEP_2)
	v_add_f32_e32 v6, v6, v28
	v_add_f32_e32 v7, v51, v52
	s_wait_dscnt 0x0
	v_mul_f32_e32 v28, v47, v44
	v_dual_add_f32 v6, v6, v30 :: v_dual_add_f32 v7, v7, v56
	s_delay_alu instid0(VALU_DEP_2) | instskip(SKIP_1) | instid1(VALU_DEP_3)
	v_fmac_f32_e32 v28, v48, v43
	v_fma_f32 v30, v37, v41, -v53
	v_dual_add_f32 v6, v6, v40 :: v_dual_add_f32 v7, v7, v31
	s_delay_alu instid0(VALU_DEP_1) | instskip(SKIP_1) | instid1(VALU_DEP_2)
	v_dual_add_f32 v6, v6, v8 :: v_dual_add_f32 v7, v7, v27
	v_mul_f32_e32 v27, v50, v46
	v_dual_add_f32 v6, v6, v28 :: v_dual_add_f32 v7, v7, v29
	v_mul_f32_e32 v29, v49, v46
	s_delay_alu instid0(VALU_DEP_3) | instskip(NEXT) | instid1(VALU_DEP_3)
	v_fma_f32 v8, v49, v45, -v27
	v_add_f32_e32 v7, v7, v30
	s_delay_alu instid0(VALU_DEP_3) | instskip(NEXT) | instid1(VALU_DEP_1)
	v_fmac_f32_e32 v29, v50, v45
	v_dual_mul_f32 v9, v48, v44 :: v_dual_add_f32 v6, v6, v29
	s_delay_alu instid0(VALU_DEP_1) | instskip(NEXT) | instid1(VALU_DEP_1)
	v_fma_f32 v9, v47, v43, -v9
	v_add_f32_e32 v7, v7, v9
	s_delay_alu instid0(VALU_DEP_1) | instskip(NEXT) | instid1(VALU_DEP_1)
	v_dual_add_f32 v7, v7, v8 :: v_dual_mul_f32 v8, s5, v6
	v_mul_f32_e32 v9, s5, v7
	s_delay_alu instid0(VALU_DEP_2) | instskip(SKIP_1) | instid1(VALU_DEP_1)
	v_fma_f32 v7, s4, v7, -v8
	s_wait_loadcnt 0x0
	v_dual_fmac_f32 v9, s4, v6 :: v_dual_add_f32 v4, v4, v7
	s_delay_alu instid0(VALU_DEP_1)
	v_add_f32_e32 v5, v5, v9
	flat_store_b64 v[2:3], v[4:5]
	s_branch .LBB46_9
.LBB46_16:
	s_endpgm
	.section	.rodata,"a",@progbits
	.p2align	6, 0x0
	.amdhsa_kernel _ZL24rocblas_symm_hemm_kernelILb0ELb1ELi32EPK19rocblas_complex_numIfEPKS3_PKPS1_EvbiiT2_T3_lllSA_lllT4_llli
		.amdhsa_group_segment_fixed_size 16384
		.amdhsa_private_segment_fixed_size 0
		.amdhsa_kernarg_size 384
		.amdhsa_user_sgpr_count 2
		.amdhsa_user_sgpr_dispatch_ptr 0
		.amdhsa_user_sgpr_queue_ptr 0
		.amdhsa_user_sgpr_kernarg_segment_ptr 1
		.amdhsa_user_sgpr_dispatch_id 0
		.amdhsa_user_sgpr_private_segment_size 0
		.amdhsa_wavefront_size32 1
		.amdhsa_uses_dynamic_stack 0
		.amdhsa_enable_private_segment 0
		.amdhsa_system_sgpr_workgroup_id_x 1
		.amdhsa_system_sgpr_workgroup_id_y 1
		.amdhsa_system_sgpr_workgroup_id_z 1
		.amdhsa_system_sgpr_workgroup_info 0
		.amdhsa_system_vgpr_workitem_id 1
		.amdhsa_next_free_vgpr 137
		.amdhsa_next_free_sgpr 39
		.amdhsa_reserve_vcc 1
		.amdhsa_float_round_mode_32 0
		.amdhsa_float_round_mode_16_64 0
		.amdhsa_float_denorm_mode_32 3
		.amdhsa_float_denorm_mode_16_64 3
		.amdhsa_fp16_overflow 0
		.amdhsa_workgroup_processor_mode 1
		.amdhsa_memory_ordered 1
		.amdhsa_forward_progress 1
		.amdhsa_inst_pref_size 20
		.amdhsa_round_robin_scheduling 0
		.amdhsa_exception_fp_ieee_invalid_op 0
		.amdhsa_exception_fp_denorm_src 0
		.amdhsa_exception_fp_ieee_div_zero 0
		.amdhsa_exception_fp_ieee_overflow 0
		.amdhsa_exception_fp_ieee_underflow 0
		.amdhsa_exception_fp_ieee_inexact 0
		.amdhsa_exception_int_div_zero 0
	.end_amdhsa_kernel
	.section	.text._ZL24rocblas_symm_hemm_kernelILb0ELb1ELi32EPK19rocblas_complex_numIfEPKS3_PKPS1_EvbiiT2_T3_lllSA_lllT4_llli,"axG",@progbits,_ZL24rocblas_symm_hemm_kernelILb0ELb1ELi32EPK19rocblas_complex_numIfEPKS3_PKPS1_EvbiiT2_T3_lllSA_lllT4_llli,comdat
.Lfunc_end46:
	.size	_ZL24rocblas_symm_hemm_kernelILb0ELb1ELi32EPK19rocblas_complex_numIfEPKS3_PKPS1_EvbiiT2_T3_lllSA_lllT4_llli, .Lfunc_end46-_ZL24rocblas_symm_hemm_kernelILb0ELb1ELi32EPK19rocblas_complex_numIfEPKS3_PKPS1_EvbiiT2_T3_lllSA_lllT4_llli
                                        ; -- End function
	.set _ZL24rocblas_symm_hemm_kernelILb0ELb1ELi32EPK19rocblas_complex_numIfEPKS3_PKPS1_EvbiiT2_T3_lllSA_lllT4_llli.num_vgpr, 137
	.set _ZL24rocblas_symm_hemm_kernelILb0ELb1ELi32EPK19rocblas_complex_numIfEPKS3_PKPS1_EvbiiT2_T3_lllSA_lllT4_llli.num_agpr, 0
	.set _ZL24rocblas_symm_hemm_kernelILb0ELb1ELi32EPK19rocblas_complex_numIfEPKS3_PKPS1_EvbiiT2_T3_lllSA_lllT4_llli.numbered_sgpr, 39
	.set _ZL24rocblas_symm_hemm_kernelILb0ELb1ELi32EPK19rocblas_complex_numIfEPKS3_PKPS1_EvbiiT2_T3_lllSA_lllT4_llli.num_named_barrier, 0
	.set _ZL24rocblas_symm_hemm_kernelILb0ELb1ELi32EPK19rocblas_complex_numIfEPKS3_PKPS1_EvbiiT2_T3_lllSA_lllT4_llli.private_seg_size, 0
	.set _ZL24rocblas_symm_hemm_kernelILb0ELb1ELi32EPK19rocblas_complex_numIfEPKS3_PKPS1_EvbiiT2_T3_lllSA_lllT4_llli.uses_vcc, 1
	.set _ZL24rocblas_symm_hemm_kernelILb0ELb1ELi32EPK19rocblas_complex_numIfEPKS3_PKPS1_EvbiiT2_T3_lllSA_lllT4_llli.uses_flat_scratch, 0
	.set _ZL24rocblas_symm_hemm_kernelILb0ELb1ELi32EPK19rocblas_complex_numIfEPKS3_PKPS1_EvbiiT2_T3_lllSA_lllT4_llli.has_dyn_sized_stack, 0
	.set _ZL24rocblas_symm_hemm_kernelILb0ELb1ELi32EPK19rocblas_complex_numIfEPKS3_PKPS1_EvbiiT2_T3_lllSA_lllT4_llli.has_recursion, 0
	.set _ZL24rocblas_symm_hemm_kernelILb0ELb1ELi32EPK19rocblas_complex_numIfEPKS3_PKPS1_EvbiiT2_T3_lllSA_lllT4_llli.has_indirect_call, 0
	.section	.AMDGPU.csdata,"",@progbits
; Kernel info:
; codeLenInByte = 2496
; TotalNumSgprs: 41
; NumVgprs: 137
; ScratchSize: 0
; MemoryBound: 0
; FloatMode: 240
; IeeeMode: 1
; LDSByteSize: 16384 bytes/workgroup (compile time only)
; SGPRBlocks: 0
; VGPRBlocks: 17
; NumSGPRsForWavesPerEU: 41
; NumVGPRsForWavesPerEU: 137
; Occupancy: 10
; WaveLimiterHint : 1
; COMPUTE_PGM_RSRC2:SCRATCH_EN: 0
; COMPUTE_PGM_RSRC2:USER_SGPR: 2
; COMPUTE_PGM_RSRC2:TRAP_HANDLER: 0
; COMPUTE_PGM_RSRC2:TGID_X_EN: 1
; COMPUTE_PGM_RSRC2:TGID_Y_EN: 1
; COMPUTE_PGM_RSRC2:TGID_Z_EN: 1
; COMPUTE_PGM_RSRC2:TIDIG_COMP_CNT: 1
	.section	.text._ZL25rocblas_symm_scale_kernelILi128ELi8E19rocblas_complex_numIfEPKPS1_EviiT1_T2_llli,"axG",@progbits,_ZL25rocblas_symm_scale_kernelILi128ELi8E19rocblas_complex_numIfEPKPS1_EviiT1_T2_llli,comdat
	.globl	_ZL25rocblas_symm_scale_kernelILi128ELi8E19rocblas_complex_numIfEPKPS1_EviiT1_T2_llli ; -- Begin function _ZL25rocblas_symm_scale_kernelILi128ELi8E19rocblas_complex_numIfEPKPS1_EviiT1_T2_llli
	.p2align	8
	.type	_ZL25rocblas_symm_scale_kernelILi128ELi8E19rocblas_complex_numIfEPKPS1_EviiT1_T2_llli,@function
_ZL25rocblas_symm_scale_kernelILi128ELi8E19rocblas_complex_numIfEPKPS1_EviiT1_T2_llli: ; @_ZL25rocblas_symm_scale_kernelILi128ELi8E19rocblas_complex_numIfEPKPS1_EviiT1_T2_llli
; %bb.0:
	s_load_b128 s[4:7], s[0:1], 0x0
	s_wait_kmcnt 0x0
	s_cmp_eq_f32 s6, 1.0
	s_cselect_b32 s2, -1, 0
	s_cmp_eq_f32 s7, 0
	s_cselect_b32 s3, -1, 0
	s_delay_alu instid0(SALU_CYCLE_1) | instskip(NEXT) | instid1(SALU_CYCLE_1)
	s_and_b32 s2, s2, s3
	s_and_b32 vcc_lo, exec_lo, s2
	s_cbranch_vccnz .LBB47_9
; %bb.1:
	s_load_b32 s18, s[0:1], 0x30
	s_lshr_b32 s12, ttmp7, 16
	s_wait_kmcnt 0x0
	s_cmp_ge_u32 s12, s18
	s_cbranch_scc1 .LBB47_9
; %bb.2:
	s_clause 0x1
	s_load_b64 s[16:17], s[0:1], 0x20
	s_load_b128 s[8:11], s[0:1], 0x10
	v_bfe_u32 v1, v0, 10, 10
	s_and_b32 s2, ttmp7, 0xffff
	v_and_b32_e32 v0, 0x3ff, v0
	s_ashr_i32 s15, s5, 31
	s_mov_b32 s14, s5
	v_lshl_add_u32 v1, s2, 3, v1
	s_or_b32 s3, s6, s7
	s_wait_alu 0xfffe
	s_bitset0_b32 s3, 31
	s_wait_kmcnt 0x0
	v_mad_co_u64_u32 v[3:4], null, s16, v1, 0
	s_delay_alu instid0(VALU_DEP_1) | instskip(NEXT) | instid1(VALU_DEP_1)
	v_mov_b32_e32 v2, v4
	v_mad_co_u64_u32 v[4:5], null, s17, v1, v[2:3]
	v_mov_b32_e32 v2, 0
	v_lshl_add_u32 v5, ttmp9, 7, v0
	s_delay_alu instid0(VALU_DEP_2) | instskip(NEXT) | instid1(VALU_DEP_2)
	v_cmp_gt_i64_e32 vcc_lo, s[14:15], v[1:2]
	v_cmp_gt_u32_e64 s2, s4, v5
	v_mov_b32_e32 v6, v2
	v_lshlrev_b64_e32 v[3:4], 3, v[3:4]
	s_add_nc_u64 s[4:5], s[0:1], 56
	s_and_b32 s19, s2, vcc_lo
	s_wait_alu 0xfffe
	s_cmp_lg_u32 s3, 0
	v_lshlrev_b64_e32 v[5:6], 3, v[5:6]
	s_cselect_b32 s20, -1, 0
	s_lshl_b64 s[2:3], s[10:11], 3
	s_lshl_b64 s[10:11], s[16:17], 3
	s_wait_alu 0xfffe
	v_add_co_u32 v0, vcc_lo, v3, s2
	s_delay_alu instid0(VALU_DEP_1) | instskip(SKIP_4) | instid1(VALU_DEP_2)
	v_add_co_ci_u32_e64 v3, null, s3, v4, vcc_lo
	s_mov_b32 s3, 0
	v_add_co_u32 v4, vcc_lo, v0, v5
	s_wait_alu 0xfffd
	v_add_co_ci_u32_e64 v0, null, v3, v6, vcc_lo
	v_or_b32_e32 v9, 4, v4
	s_branch .LBB47_4
.LBB47_3:                               ;   in Loop: Header=BB47_4 Depth=1
	s_wait_alu 0xfffe
	s_or_b32 exec_lo, exec_lo, s1
	s_add_co_i32 s12, s12, 0x10000
	s_delay_alu instid0(SALU_CYCLE_1)
	s_cmp_lt_u32 s12, s18
	s_cbranch_scc0 .LBB47_9
.LBB47_4:                               ; =>This Loop Header: Depth=1
                                        ;     Child Loop BB47_7 Depth 2
	s_and_saveexec_b32 s1, s19
	s_cbranch_execz .LBB47_3
; %bb.5:                                ;   in Loop: Header=BB47_4 Depth=1
	s_wait_alu 0xfffe
	s_mov_b32 s13, s3
	s_load_b32 s0, s[4:5], 0x4
	s_lshl_b64 s[16:17], s[12:13], 3
	v_dual_mov_b32 v6, v2 :: v_dual_mov_b32 v5, v1
	s_wait_alu 0xfffe
	s_add_nc_u64 s[16:17], s[8:9], s[16:17]
	s_mov_b32 s13, 0
	global_load_b64 v[3:4], v2, s[16:17]
	s_wait_kmcnt 0x0
	s_lshl_b32 s2, s0, 3
	s_wait_alu 0xfffe
	s_mul_u64 s[16:17], s[10:11], s[2:3]
	s_wait_loadcnt 0x0
	v_add_co_u32 v3, vcc_lo, v3, v9
	s_wait_alu 0xfffd
	v_add_co_ci_u32_e64 v4, null, v4, v0, vcc_lo
	s_branch .LBB47_7
.LBB47_6:                               ;   in Loop: Header=BB47_7 Depth=2
	v_add_co_u32 v5, vcc_lo, v5, s2
	s_wait_alu 0xfffd
	v_add_co_ci_u32_e64 v6, null, 0, v6, vcc_lo
	flat_store_b64 v[3:4], v[7:8] offset:-4
	v_add_co_u32 v3, s0, v3, s16
	v_cmp_le_i64_e32 vcc_lo, s[14:15], v[5:6]
	s_wait_alu 0xf1ff
	v_add_co_ci_u32_e64 v4, null, s17, v4, s0
	s_or_b32 s13, vcc_lo, s13
	s_delay_alu instid0(SALU_CYCLE_1)
	s_and_not1_b32 exec_lo, exec_lo, s13
	s_cbranch_execz .LBB47_3
.LBB47_7:                               ;   Parent Loop BB47_4 Depth=1
                                        ; =>  This Inner Loop Header: Depth=2
	v_dual_mov_b32 v8, 0 :: v_dual_mov_b32 v7, 0
	s_and_not1_b32 vcc_lo, exec_lo, s20
	s_wait_alu 0xfffe
	s_cbranch_vccnz .LBB47_6
; %bb.8:                                ;   in Loop: Header=BB47_7 Depth=2
	flat_load_b64 v[10:11], v[3:4] offset:-4
	s_wait_loadcnt_dscnt 0x0
	v_mul_f32_e32 v8, s6, v11
	s_delay_alu instid0(VALU_DEP_1) | instskip(NEXT) | instid1(VALU_DEP_1)
	v_dual_mul_f32 v7, s7, v11 :: v_dual_fmac_f32 v8, s7, v10
	v_fma_f32 v7, v10, s6, -v7
	s_branch .LBB47_6
.LBB47_9:
	s_endpgm
	.section	.rodata,"a",@progbits
	.p2align	6, 0x0
	.amdhsa_kernel _ZL25rocblas_symm_scale_kernelILi128ELi8E19rocblas_complex_numIfEPKPS1_EviiT1_T2_llli
		.amdhsa_group_segment_fixed_size 0
		.amdhsa_private_segment_fixed_size 0
		.amdhsa_kernarg_size 312
		.amdhsa_user_sgpr_count 2
		.amdhsa_user_sgpr_dispatch_ptr 0
		.amdhsa_user_sgpr_queue_ptr 0
		.amdhsa_user_sgpr_kernarg_segment_ptr 1
		.amdhsa_user_sgpr_dispatch_id 0
		.amdhsa_user_sgpr_private_segment_size 0
		.amdhsa_wavefront_size32 1
		.amdhsa_uses_dynamic_stack 0
		.amdhsa_enable_private_segment 0
		.amdhsa_system_sgpr_workgroup_id_x 1
		.amdhsa_system_sgpr_workgroup_id_y 1
		.amdhsa_system_sgpr_workgroup_id_z 1
		.amdhsa_system_sgpr_workgroup_info 0
		.amdhsa_system_vgpr_workitem_id 1
		.amdhsa_next_free_vgpr 12
		.amdhsa_next_free_sgpr 21
		.amdhsa_reserve_vcc 1
		.amdhsa_float_round_mode_32 0
		.amdhsa_float_round_mode_16_64 0
		.amdhsa_float_denorm_mode_32 3
		.amdhsa_float_denorm_mode_16_64 3
		.amdhsa_fp16_overflow 0
		.amdhsa_workgroup_processor_mode 1
		.amdhsa_memory_ordered 1
		.amdhsa_forward_progress 1
		.amdhsa_inst_pref_size 5
		.amdhsa_round_robin_scheduling 0
		.amdhsa_exception_fp_ieee_invalid_op 0
		.amdhsa_exception_fp_denorm_src 0
		.amdhsa_exception_fp_ieee_div_zero 0
		.amdhsa_exception_fp_ieee_overflow 0
		.amdhsa_exception_fp_ieee_underflow 0
		.amdhsa_exception_fp_ieee_inexact 0
		.amdhsa_exception_int_div_zero 0
	.end_amdhsa_kernel
	.section	.text._ZL25rocblas_symm_scale_kernelILi128ELi8E19rocblas_complex_numIfEPKPS1_EviiT1_T2_llli,"axG",@progbits,_ZL25rocblas_symm_scale_kernelILi128ELi8E19rocblas_complex_numIfEPKPS1_EviiT1_T2_llli,comdat
.Lfunc_end47:
	.size	_ZL25rocblas_symm_scale_kernelILi128ELi8E19rocblas_complex_numIfEPKPS1_EviiT1_T2_llli, .Lfunc_end47-_ZL25rocblas_symm_scale_kernelILi128ELi8E19rocblas_complex_numIfEPKPS1_EviiT1_T2_llli
                                        ; -- End function
	.set _ZL25rocblas_symm_scale_kernelILi128ELi8E19rocblas_complex_numIfEPKPS1_EviiT1_T2_llli.num_vgpr, 12
	.set _ZL25rocblas_symm_scale_kernelILi128ELi8E19rocblas_complex_numIfEPKPS1_EviiT1_T2_llli.num_agpr, 0
	.set _ZL25rocblas_symm_scale_kernelILi128ELi8E19rocblas_complex_numIfEPKPS1_EviiT1_T2_llli.numbered_sgpr, 21
	.set _ZL25rocblas_symm_scale_kernelILi128ELi8E19rocblas_complex_numIfEPKPS1_EviiT1_T2_llli.num_named_barrier, 0
	.set _ZL25rocblas_symm_scale_kernelILi128ELi8E19rocblas_complex_numIfEPKPS1_EviiT1_T2_llli.private_seg_size, 0
	.set _ZL25rocblas_symm_scale_kernelILi128ELi8E19rocblas_complex_numIfEPKPS1_EviiT1_T2_llli.uses_vcc, 1
	.set _ZL25rocblas_symm_scale_kernelILi128ELi8E19rocblas_complex_numIfEPKPS1_EviiT1_T2_llli.uses_flat_scratch, 0
	.set _ZL25rocblas_symm_scale_kernelILi128ELi8E19rocblas_complex_numIfEPKPS1_EviiT1_T2_llli.has_dyn_sized_stack, 0
	.set _ZL25rocblas_symm_scale_kernelILi128ELi8E19rocblas_complex_numIfEPKPS1_EviiT1_T2_llli.has_recursion, 0
	.set _ZL25rocblas_symm_scale_kernelILi128ELi8E19rocblas_complex_numIfEPKPS1_EviiT1_T2_llli.has_indirect_call, 0
	.section	.AMDGPU.csdata,"",@progbits
; Kernel info:
; codeLenInByte = 564
; TotalNumSgprs: 23
; NumVgprs: 12
; ScratchSize: 0
; MemoryBound: 0
; FloatMode: 240
; IeeeMode: 1
; LDSByteSize: 0 bytes/workgroup (compile time only)
; SGPRBlocks: 0
; VGPRBlocks: 1
; NumSGPRsForWavesPerEU: 23
; NumVGPRsForWavesPerEU: 12
; Occupancy: 16
; WaveLimiterHint : 0
; COMPUTE_PGM_RSRC2:SCRATCH_EN: 0
; COMPUTE_PGM_RSRC2:USER_SGPR: 2
; COMPUTE_PGM_RSRC2:TRAP_HANDLER: 0
; COMPUTE_PGM_RSRC2:TGID_X_EN: 1
; COMPUTE_PGM_RSRC2:TGID_Y_EN: 1
; COMPUTE_PGM_RSRC2:TGID_Z_EN: 1
; COMPUTE_PGM_RSRC2:TIDIG_COMP_CNT: 1
	.section	.text._ZL24rocblas_symm_hemm_kernelILb0ELb0ELi32E19rocblas_complex_numIfEPKPKS1_PKPS1_EvbiiT2_T3_lllSA_lllT4_llli,"axG",@progbits,_ZL24rocblas_symm_hemm_kernelILb0ELb0ELi32E19rocblas_complex_numIfEPKPKS1_PKPS1_EvbiiT2_T3_lllSA_lllT4_llli,comdat
	.globl	_ZL24rocblas_symm_hemm_kernelILb0ELb0ELi32E19rocblas_complex_numIfEPKPKS1_PKPS1_EvbiiT2_T3_lllSA_lllT4_llli ; -- Begin function _ZL24rocblas_symm_hemm_kernelILb0ELb0ELi32E19rocblas_complex_numIfEPKPKS1_PKPS1_EvbiiT2_T3_lllSA_lllT4_llli
	.p2align	8
	.type	_ZL24rocblas_symm_hemm_kernelILb0ELb0ELi32E19rocblas_complex_numIfEPKPKS1_PKPS1_EvbiiT2_T3_lllSA_lllT4_llli,@function
_ZL24rocblas_symm_hemm_kernelILb0ELb0ELi32E19rocblas_complex_numIfEPKPKS1_PKPS1_EvbiiT2_T3_lllSA_lllT4_llli: ; @_ZL24rocblas_symm_hemm_kernelILb0ELb0ELi32E19rocblas_complex_numIfEPKPKS1_PKPS1_EvbiiT2_T3_lllSA_lllT4_llli
; %bb.0:
	s_clause 0x1
	s_load_b128 s[4:7], s[0:1], 0x0
	s_load_b32 s30, s[0:1], 0x10
	s_wait_kmcnt 0x0
	s_cmp_eq_f32 s7, 0
	s_cselect_b32 s2, -1, 0
	s_cmp_eq_f32 s30, 0
	s_cselect_b32 s3, -1, 0
	s_delay_alu instid0(SALU_CYCLE_1) | instskip(NEXT) | instid1(SALU_CYCLE_1)
	s_and_b32 s2, s2, s3
	s_and_b32 vcc_lo, exec_lo, s2
	s_cbranch_vccnz .LBB48_16
; %bb.1:
	s_load_b32 s31, s[0:1], 0x78
	s_lshr_b32 s20, ttmp7, 16
	s_wait_kmcnt 0x0
	s_cmp_ge_u32 s20, s31
	s_cbranch_scc1 .LBB48_16
; %bb.2:
	s_clause 0x5
	s_load_b128 s[8:11], s[0:1], 0x18
	s_load_b64 s[22:23], s[0:1], 0x28
	s_load_b128 s[12:15], s[0:1], 0x38
	s_load_b64 s[24:25], s[0:1], 0x48
	s_load_b64 s[26:27], s[0:1], 0x68
	s_load_b128 s[16:19], s[0:1], 0x58
	v_bfe_u32 v11, v0, 10, 10
	v_dual_mov_b32 v17, 0 :: v_dual_and_b32 v12, 0x3ff, v0
	s_bitcmp1_b32 s4, 0
	s_mov_b32 s21, 0
	s_cselect_b32 s2, -1, 0
	s_add_co_i32 s3, s6, -1
	v_lshlrev_b32_e32 v1, 3, v11
	v_lshlrev_b32_e32 v13, 8, v12
	v_lshl_add_u32 v0, ttmp9, 5, v12
	s_ashr_i32 s4, s3, 31
	s_add_nc_u64 s[28:29], s[0:1], 0x80
	s_lshr_b32 s4, s4, 27
	v_or_b32_e32 v14, 0x2000, v1
	v_add_nc_u32_e32 v15, v13, v1
	v_ashrrev_i32_e32 v1, 31, v0
	s_add_co_i32 s3, s3, s4
	s_and_b32 s4, ttmp7, 0xffff
	s_ashr_i32 s33, s3, 5
	v_add_nc_u32_e32 v16, v14, v13
	s_cmp_le_i32 s4, s33
	v_lshlrev_b64_e32 v[1:2], 3, v[0:1]
	v_cmp_gt_i32_e64 s3, s5, v0
	v_add_nc_u32_e32 v18, 0x800, v14
	v_add_nc_u32_e32 v19, 0x1000, v14
	;; [unrolled: 1-line block ×3, first 2 shown]
	s_cselect_b32 s34, -1, 0
	s_cmp_gt_i32 s5, 0
	s_cselect_b32 s1, -1, 0
	s_wait_kmcnt 0x0
	s_lshl_b64 s[10:11], s[10:11], 3
	s_lshl_b64 s[14:15], s[14:15], 3
	;; [unrolled: 1-line block ×3, first 2 shown]
	s_branch .LBB48_4
.LBB48_3:                               ;   in Loop: Header=BB48_4 Depth=1
	s_add_co_i32 s20, s20, 0x10000
	s_delay_alu instid0(SALU_CYCLE_1)
	s_cmp_lt_u32 s20, s31
	s_cbranch_scc0 .LBB48_16
.LBB48_4:                               ; =>This Loop Header: Depth=1
                                        ;     Child Loop BB48_7 Depth 2
                                        ;       Child Loop BB48_10 Depth 3
	s_and_not1_b32 vcc_lo, exec_lo, s34
	s_wait_alu 0xfffe
	s_cbranch_vccnz .LBB48_3
; %bb.5:                                ;   in Loop: Header=BB48_4 Depth=1
	s_lshl_b64 s[36:37], s[20:21], 3
	s_load_b32 s35, s[28:29], 0x4
	s_add_nc_u64 s[38:39], s[8:9], s[36:37]
	global_load_b64 v[3:4], v17, s[38:39]
	s_add_nc_u64 s[38:39], s[16:17], s[36:37]
	s_add_nc_u64 s[36:37], s[12:13], s[36:37]
	s_clause 0x1
	global_load_b64 v[5:6], v17, s[38:39]
	global_load_b64 v[7:8], v17, s[36:37]
	s_mov_b32 s36, s4
	s_wait_loadcnt 0x2
	v_add_co_u32 v21, vcc_lo, v3, s10
	s_wait_alu 0xfffd
	v_add_co_ci_u32_e64 v22, null, s11, v4, vcc_lo
	s_wait_loadcnt 0x1
	v_add_co_u32 v3, vcc_lo, v5, s18
	s_wait_alu 0xfffd
	v_add_co_ci_u32_e64 v4, null, s19, v6, vcc_lo
	s_wait_loadcnt 0x0
	v_add_co_u32 v23, vcc_lo, v7, s14
	s_wait_alu 0xfffd
	v_add_co_ci_u32_e64 v24, null, s15, v8, vcc_lo
	v_add_co_u32 v25, vcc_lo, v3, v1
	s_wait_alu 0xfffd
	v_add_co_ci_u32_e64 v26, null, v4, v2, vcc_lo
	s_branch .LBB48_7
.LBB48_6:                               ;   in Loop: Header=BB48_7 Depth=2
	s_wait_kmcnt 0x0
	s_add_co_i32 s36, s36, s35
	s_wait_alu 0xfffe
	s_cmp_gt_i32 s36, s33
	s_cbranch_scc1 .LBB48_3
.LBB48_7:                               ;   Parent Loop BB48_4 Depth=1
                                        ; =>  This Loop Header: Depth=2
                                        ;       Child Loop BB48_10 Depth 3
	s_and_not1_b32 vcc_lo, exec_lo, s1
	s_wait_alu 0xfffe
	s_cbranch_vccnz .LBB48_6
; %bb.8:                                ;   in Loop: Header=BB48_7 Depth=2
	v_lshl_add_u32 v7, s36, 5, v11
	s_mov_b32 s38, 0
	s_delay_alu instid0(VALU_DEP_1) | instskip(SKIP_3) | instid1(VALU_DEP_4)
	v_ashrrev_i32_e32 v8, 31, v7
	v_mul_lo_u32 v9, s25, v7
	v_mad_co_u64_u32 v[3:4], null, s24, v7, 0
	v_mul_lo_u32 v27, s27, v7
	v_mul_lo_u32 v10, s24, v8
	v_mad_co_u64_u32 v[5:6], null, s26, v7, 0
	v_mul_lo_u32 v8, s26, v8
	v_cmp_gt_i32_e32 vcc_lo, s6, v7
	s_delay_alu instid0(VALU_DEP_4) | instskip(SKIP_1) | instid1(VALU_DEP_3)
	v_add3_u32 v4, v4, v10, v9
	s_and_b32 s37, s3, vcc_lo
	v_add3_u32 v6, v6, v8, v27
	s_delay_alu instid0(VALU_DEP_2) | instskip(NEXT) | instid1(VALU_DEP_2)
	v_lshlrev_b64_e32 v[3:4], 3, v[3:4]
	v_lshlrev_b64_e32 v[5:6], 3, v[5:6]
	s_delay_alu instid0(VALU_DEP_2) | instskip(SKIP_1) | instid1(VALU_DEP_3)
	v_add_co_u32 v27, s0, v23, v3
	s_wait_alu 0xf1ff
	v_add_co_ci_u32_e64 v28, null, v24, v4, s0
	s_delay_alu instid0(VALU_DEP_3)
	v_add_co_u32 v3, s0, v25, v5
	s_wait_alu 0xf1ff
	v_add_co_ci_u32_e64 v4, null, v26, v6, s0
	s_branch .LBB48_10
.LBB48_9:                               ;   in Loop: Header=BB48_10 Depth=3
	s_wait_alu 0xfffe
	s_or_b32 exec_lo, exec_lo, s0
	s_add_co_i32 s38, s38, 32
	s_wait_storecnt 0x0
	s_wait_loadcnt_dscnt 0x0
	s_wait_alu 0xfffe
	s_cmp_ge_i32 s38, s5
	s_barrier_signal -1
	s_barrier_wait -1
	global_inv scope:SCOPE_SE
	s_cbranch_scc1 .LBB48_6
.LBB48_10:                              ;   Parent Loop BB48_4 Depth=1
                                        ;     Parent Loop BB48_7 Depth=2
                                        ; =>    This Inner Loop Header: Depth=3
	s_wait_alu 0xfffe
	v_add_nc_u32_e32 v5, s38, v11
	s_delay_alu instid0(VALU_DEP_1) | instskip(SKIP_1) | instid1(VALU_DEP_1)
	v_cndmask_b32_e64 v6, v5, v0, s2
	v_cndmask_b32_e64 v7, v0, v5, s2
	v_cmp_gt_i32_e64 s0, v6, v7
	v_mov_b32_e32 v7, 0
	s_wait_alu 0xf1ff
	s_delay_alu instid0(VALU_DEP_2) | instskip(SKIP_2) | instid1(VALU_DEP_2)
	v_cndmask_b32_e64 v6, v0, v5, s0
	v_cndmask_b32_e64 v9, v5, v0, s0
	v_mov_b32_e32 v5, 0
	v_max_i32_e32 v8, v6, v9
	s_delay_alu instid0(VALU_DEP_1)
	v_cmp_gt_i32_e64 s0, s5, v8
	v_mov_b32_e32 v8, 0
	s_and_saveexec_b32 s39, s0
	s_cbranch_execz .LBB48_12
; %bb.11:                               ;   in Loop: Header=BB48_10 Depth=3
	v_ashrrev_i32_e32 v7, 31, v9
	v_mul_lo_u32 v10, s23, v9
	v_mad_co_u64_u32 v[8:9], null, s22, v9, 0
	s_delay_alu instid0(VALU_DEP_3) | instskip(NEXT) | instid1(VALU_DEP_1)
	v_mul_lo_u32 v7, s22, v7
	v_add3_u32 v9, v9, v7, v10
	v_ashrrev_i32_e32 v7, 31, v6
	s_delay_alu instid0(VALU_DEP_2) | instskip(NEXT) | instid1(VALU_DEP_2)
	v_lshlrev_b64_e32 v[8:9], 3, v[8:9]
	v_lshlrev_b64_e32 v[6:7], 3, v[6:7]
	s_delay_alu instid0(VALU_DEP_2) | instskip(SKIP_1) | instid1(VALU_DEP_3)
	v_add_co_u32 v8, s0, v21, v8
	s_wait_alu 0xf1ff
	v_add_co_ci_u32_e64 v9, null, v22, v9, s0
	s_delay_alu instid0(VALU_DEP_2) | instskip(SKIP_1) | instid1(VALU_DEP_2)
	v_add_co_u32 v6, s0, v8, v6
	s_wait_alu 0xf1ff
	v_add_co_ci_u32_e64 v7, null, v9, v7, s0
	flat_load_b64 v[7:8], v[6:7]
.LBB48_12:                              ;   in Loop: Header=BB48_10 Depth=3
	s_wait_alu 0xfffe
	s_or_b32 exec_lo, exec_lo, s39
	v_dual_mov_b32 v6, 0 :: v_dual_add_nc_u32 v9, s38, v12
	s_wait_loadcnt_dscnt 0x0
	ds_store_b64 v15, v[7:8]
	v_cmp_gt_i32_e64 s0, s5, v9
	s_and_b32 s0, s0, vcc_lo
	s_wait_alu 0xfffe
	s_and_saveexec_b32 s39, s0
	s_cbranch_execz .LBB48_14
; %bb.13:                               ;   in Loop: Header=BB48_10 Depth=3
	v_ashrrev_i32_e32 v10, 31, v9
	s_delay_alu instid0(VALU_DEP_1) | instskip(NEXT) | instid1(VALU_DEP_1)
	v_lshlrev_b64_e32 v[5:6], 3, v[9:10]
	v_add_co_u32 v5, s0, v27, v5
	s_wait_alu 0xf1ff
	s_delay_alu instid0(VALU_DEP_2)
	v_add_co_ci_u32_e64 v6, null, v28, v6, s0
	flat_load_b64 v[5:6], v[5:6]
.LBB48_14:                              ;   in Loop: Header=BB48_10 Depth=3
	s_wait_alu 0xfffe
	s_or_b32 exec_lo, exec_lo, s39
	s_wait_loadcnt_dscnt 0x0
	ds_store_b64 v16, v[5:6]
	s_wait_dscnt 0x0
	s_barrier_signal -1
	s_barrier_wait -1
	global_inv scope:SCOPE_SE
	s_and_saveexec_b32 s0, s37
	s_cbranch_execz .LBB48_9
; %bb.15:                               ;   in Loop: Header=BB48_10 Depth=3
	flat_load_b64 v[5:6], v[3:4]
	ds_load_2addr_b64 v[7:10], v14 offset1:32
	ds_load_b128 v[29:32], v13
	ds_load_b128 v[33:36], v13 offset:16
	ds_load_b128 v[37:40], v13 offset:32
	;; [unrolled: 1-line block ×3, first 2 shown]
	ds_load_2addr_b64 v[45:48], v14 offset0:64 offset1:96
	ds_load_2addr_b64 v[49:52], v14 offset0:128 offset1:160
	;; [unrolled: 1-line block ×3, first 2 shown]
	ds_load_2addr_b64 v[57:60], v18 offset1:32
	ds_load_b128 v[61:64], v13 offset:64
	ds_load_b128 v[65:68], v13 offset:80
	ds_load_2addr_b64 v[69:72], v18 offset0:64 offset1:96
	ds_load_2addr_b64 v[73:76], v18 offset0:128 offset1:160
	ds_load_b128 v[77:80], v13 offset:96
	ds_load_b128 v[81:84], v13 offset:112
	ds_load_2addr_b64 v[85:88], v18 offset0:192 offset1:224
	ds_load_2addr_b64 v[89:92], v19 offset1:32
	ds_load_b128 v[93:96], v13 offset:128
	ds_load_b128 v[97:100], v13 offset:144
	ds_load_2addr_b64 v[101:104], v19 offset0:64 offset1:96
	ds_load_2addr_b64 v[105:108], v19 offset0:128 offset1:160
	ds_load_b128 v[109:112], v13 offset:160
	ds_load_b128 v[113:116], v13 offset:176
	ds_load_2addr_b64 v[117:120], v19 offset0:192 offset1:224
	ds_load_2addr_b64 v[121:124], v20 offset1:32
	s_wait_dscnt 0x17
	v_mul_f32_e32 v125, v8, v30
	v_dual_mul_f32 v126, v7, v30 :: v_dual_mul_f32 v127, v9, v32
	v_mul_f32_e32 v30, v10, v32
	s_wait_dscnt 0x13
	v_mul_f32_e32 v32, v46, v34
	v_mul_f32_e32 v128, v45, v34
	s_wait_dscnt 0x12
	v_dual_mul_f32 v34, v48, v36 :: v_dual_mul_f32 v131, v49, v38
	v_mul_f32_e32 v130, v47, v36
	v_mul_f32_e32 v36, v50, v38
	s_wait_dscnt 0x11
	v_dual_mul_f32 v38, v52, v40 :: v_dual_mul_f32 v137, v53, v42
	v_fma_f32 v129, v9, v31, -v30
	v_dual_fmac_f32 v126, v8, v29 :: v_dual_fmac_f32 v127, v10, v31
	s_delay_alu instid0(VALU_DEP_3)
	v_fma_f32 v136, v51, v39, -v38
	v_mul_f32_e32 v38, v56, v44
	v_dual_mul_f32 v132, v51, v40 :: v_dual_fmac_f32 v137, v54, v41
	v_fmac_f32_e32 v128, v46, v33
	v_fma_f32 v135, v49, v37, -v36
	v_fmac_f32_e32 v131, v50, v37
	v_dual_mul_f32 v37, v54, v42 :: v_dual_mul_f32 v138, v55, v44
	s_wait_dscnt 0xf
	v_mul_f32_e32 v42, v58, v62
	v_fma_f32 v54, v55, v43, -v38
	v_mul_f32_e32 v55, v57, v62
	v_fma_f32 v125, v7, v29, -v125
	v_fma_f32 v134, v47, v35, -v34
	v_fmac_f32_e32 v132, v52, v39
	v_fma_f32 v53, v53, v41, -v37
	v_mul_f32_e32 v41, v60, v64
	v_fma_f32 v57, v57, v61, -v42
	v_fmac_f32_e32 v55, v58, v61
	s_wait_dscnt 0xd
	v_dual_mul_f32 v61, v70, v66 :: v_dual_fmac_f32 v138, v56, v43
	v_mul_f32_e32 v56, v59, v64
	v_mul_f32_e32 v62, v69, v66
	v_add_f32_e32 v42, 0, v125
	v_fma_f32 v58, v59, v63, -v41
	v_mul_f32_e32 v64, v71, v68
	v_fma_f32 v61, v69, v65, -v61
	s_wait_dscnt 0xb
	v_dual_fmac_f32 v62, v70, v65 :: v_dual_mul_f32 v65, v73, v78
	s_wait_dscnt 0x9
	v_dual_fmac_f32 v56, v60, v63 :: v_dual_mul_f32 v69, v86, v82
	v_mul_f32_e32 v63, v72, v68
	v_fma_f32 v133, v45, v33, -v32
	v_fmac_f32_e32 v64, v72, v67
	v_dual_fmac_f32 v130, v48, v35 :: v_dual_add_f32 v43, 0, v126
	s_delay_alu instid0(VALU_DEP_4) | instskip(SKIP_2) | instid1(VALU_DEP_4)
	v_fma_f32 v63, v71, v67, -v63
	v_mul_f32_e32 v67, v76, v80
	v_add_f32_e32 v59, v42, v129
	v_dual_mul_f32 v71, v88, v84 :: v_dual_add_f32 v60, v43, v127
	ds_load_b128 v[7:10], v13 offset:192
	ds_load_b128 v[29:32], v13 offset:208
	ds_load_2addr_b64 v[33:36], v20 offset0:64 offset1:96
	v_add_f32_e32 v59, v59, v133
	ds_load_2addr_b64 v[37:40], v20 offset0:128 offset1:160
	v_fmac_f32_e32 v65, v74, v77
	ds_load_b128 v[41:44], v13 offset:224
	ds_load_b128 v[45:48], v13 offset:240
	ds_load_2addr_b64 v[49:52], v20 offset0:192 offset1:224
	v_dual_add_f32 v59, v59, v134 :: v_dual_add_f32 v60, v60, v128
	s_delay_alu instid0(VALU_DEP_1) | instskip(NEXT) | instid1(VALU_DEP_1)
	v_add_f32_e32 v59, v59, v135
	v_dual_add_f32 v59, v59, v136 :: v_dual_add_f32 v60, v60, v130
	s_delay_alu instid0(VALU_DEP_1) | instskip(SKIP_2) | instid1(VALU_DEP_2)
	v_dual_add_f32 v53, v59, v53 :: v_dual_add_f32 v60, v60, v131
	s_wait_dscnt 0xe
	v_mul_f32_e32 v59, v89, v94
	v_add_f32_e32 v53, v53, v54
	s_wait_dscnt 0xc
	v_mul_f32_e32 v54, v102, v98
	s_delay_alu instid0(VALU_DEP_3) | instskip(NEXT) | instid1(VALU_DEP_3)
	v_fmac_f32_e32 v59, v90, v93
	v_add_f32_e32 v53, v53, v57
	v_mul_f32_e32 v57, v103, v100
	v_add_f32_e32 v60, v60, v132
	v_mul_f32_e32 v68, v75, v80
	s_delay_alu instid0(VALU_DEP_4) | instskip(SKIP_1) | instid1(VALU_DEP_4)
	v_dual_mul_f32 v80, v92, v96 :: v_dual_add_f32 v53, v53, v58
	v_mul_f32_e32 v72, v87, v84
	v_add_f32_e32 v60, v60, v137
	v_fmac_f32_e32 v57, v104, v99
	s_delay_alu instid0(VALU_DEP_4)
	v_add_f32_e32 v53, v53, v61
	s_wait_dscnt 0x8
	v_mul_f32_e32 v61, v117, v114
	v_add_f32_e32 v60, v60, v138
	v_mul_f32_e32 v66, v74, v78
	v_fmac_f32_e32 v72, v88, v83
	v_add_f32_e32 v53, v53, v63
	v_mul_f32_e32 v63, v120, v116
	v_dual_add_f32 v55, v60, v55 :: v_dual_mul_f32 v70, v85, v82
	v_mul_f32_e32 v82, v91, v96
	v_mul_f32_e32 v96, v105, v110
	v_fma_f32 v54, v101, v97, -v54
	s_delay_alu instid0(VALU_DEP_4) | instskip(NEXT) | instid1(VALU_DEP_1)
	v_dual_add_f32 v55, v55, v56 :: v_dual_fmac_f32 v70, v86, v81
	v_dual_fmac_f32 v96, v106, v109 :: v_dual_add_f32 v55, v55, v62
	v_fma_f32 v62, v73, v77, -v66
	v_mul_f32_e32 v78, v90, v94
	v_mul_f32_e32 v94, v104, v100
	v_fma_f32 v66, v87, v83, -v71
	v_add_f32_e32 v55, v55, v64
	v_fma_f32 v64, v75, v79, -v67
	v_add_f32_e32 v53, v53, v62
	v_mul_f32_e32 v60, v106, v110
	v_fma_f32 v67, v91, v95, -v80
	v_add_f32_e32 v55, v55, v65
	v_fma_f32 v65, v85, v81, -v69
	v_add_f32_e32 v53, v53, v64
	s_delay_alu instid0(VALU_DEP_1) | instskip(SKIP_2) | instid1(VALU_DEP_3)
	v_dual_mul_f32 v58, v107, v112 :: v_dual_add_f32 v53, v53, v65
	v_fmac_f32_e32 v68, v76, v79
	v_fma_f32 v65, v89, v93, -v78
	v_add_f32_e32 v53, v53, v66
	s_delay_alu instid0(VALU_DEP_3) | instskip(SKIP_1) | instid1(VALU_DEP_3)
	v_dual_mul_f32 v84, v101, v98 :: v_dual_add_f32 v55, v55, v68
	v_mul_f32_e32 v56, v108, v112
	v_dual_mul_f32 v62, v119, v116 :: v_dual_add_f32 v53, v53, v65
	s_wait_dscnt 0x6
	v_mul_f32_e32 v66, v124, v10
	v_add_f32_e32 v55, v55, v70
	v_mul_f32_e32 v98, v118, v114
	v_fma_f32 v65, v103, v99, -v94
	v_dual_add_f32 v53, v53, v67 :: v_dual_fmac_f32 v84, v102, v97
	s_delay_alu instid0(VALU_DEP_4) | instskip(SKIP_2) | instid1(VALU_DEP_4)
	v_add_f32_e32 v55, v55, v72
	v_fma_f32 v56, v107, v111, -v56
	v_dual_fmac_f32 v61, v118, v113 :: v_dual_fmac_f32 v62, v120, v115
	v_dual_add_f32 v53, v53, v54 :: v_dual_fmac_f32 v82, v92, v95
	s_delay_alu instid0(VALU_DEP_4) | instskip(SKIP_1) | instid1(VALU_DEP_3)
	v_dual_add_f32 v55, v55, v59 :: v_dual_mul_f32 v64, v122, v8
	v_mul_f32_e32 v8, v121, v8
	v_dual_mul_f32 v10, v123, v10 :: v_dual_add_f32 v53, v53, v65
	s_delay_alu instid0(VALU_DEP_3)
	v_add_f32_e32 v55, v55, v82
	s_wait_dscnt 0x4
	v_mul_f32_e32 v59, v34, v30
	v_fma_f32 v54, v105, v109, -v60
	v_fmac_f32_e32 v8, v122, v7
	v_dual_fmac_f32 v10, v124, v9 :: v_dual_add_f32 v55, v55, v84
	v_mul_f32_e32 v30, v33, v30
	s_delay_alu instid0(VALU_DEP_4)
	v_add_f32_e32 v53, v53, v54
	v_fma_f32 v54, v117, v113, -v98
	v_fma_f32 v33, v33, v29, -v59
	v_add_f32_e32 v55, v55, v57
	v_mul_f32_e32 v57, v36, v32
	v_fmac_f32_e32 v58, v108, v111
	v_mul_f32_e32 v32, v35, v32
	s_wait_dscnt 0x2
	v_dual_add_f32 v53, v53, v56 :: v_dual_mul_f32 v56, v38, v42
	v_dual_add_f32 v55, v55, v96 :: v_dual_mul_f32 v42, v37, v42
	s_delay_alu instid0(VALU_DEP_2) | instskip(SKIP_1) | instid1(VALU_DEP_3)
	v_dual_fmac_f32 v30, v34, v29 :: v_dual_add_f32 v53, v53, v54
	v_fma_f32 v54, v121, v7, -v64
	v_add_f32_e32 v55, v55, v58
	v_fma_f32 v58, v119, v115, -v63
	v_fmac_f32_e32 v32, v36, v31
	v_fma_f32 v29, v35, v31, -v57
	v_fma_f32 v31, v37, v41, -v56
	v_add_f32_e32 v55, v55, v61
	v_add_f32_e32 v53, v53, v58
	v_fma_f32 v58, v123, v9, -v66
	v_dual_mul_f32 v9, v39, v44 :: v_dual_fmac_f32 v42, v38, v41
	s_delay_alu instid0(VALU_DEP_4) | instskip(SKIP_1) | instid1(VALU_DEP_2)
	v_add_f32_e32 v7, v55, v62
	v_mul_f32_e32 v55, v40, v44
	v_dual_add_f32 v7, v7, v8 :: v_dual_add_f32 v8, v53, v54
	s_delay_alu instid0(VALU_DEP_1) | instskip(NEXT) | instid1(VALU_DEP_2)
	v_add_f32_e32 v8, v8, v58
	v_add_f32_e32 v7, v7, v10
	s_wait_dscnt 0x0
	v_dual_mul_f32 v10, v50, v46 :: v_dual_fmac_f32 v9, v40, v43
	s_delay_alu instid0(VALU_DEP_2) | instskip(SKIP_1) | instid1(VALU_DEP_3)
	v_dual_add_f32 v8, v8, v33 :: v_dual_add_f32 v7, v7, v30
	v_mul_f32_e32 v30, v49, v46
	v_fma_f32 v10, v49, v45, -v10
	s_delay_alu instid0(VALU_DEP_3) | instskip(SKIP_1) | instid1(VALU_DEP_4)
	v_dual_add_f32 v7, v7, v32 :: v_dual_add_f32 v8, v8, v29
	v_fma_f32 v32, v39, v43, -v55
	v_dual_mul_f32 v29, v52, v48 :: v_dual_fmac_f32 v30, v50, v45
	s_delay_alu instid0(VALU_DEP_3) | instskip(SKIP_1) | instid1(VALU_DEP_2)
	v_dual_add_f32 v7, v7, v42 :: v_dual_add_f32 v8, v8, v31
	v_mul_f32_e32 v31, v51, v48
	v_dual_add_f32 v7, v7, v9 :: v_dual_add_f32 v8, v8, v32
	s_delay_alu instid0(VALU_DEP_4) | instskip(NEXT) | instid1(VALU_DEP_3)
	v_fma_f32 v9, v51, v47, -v29
	v_fmac_f32_e32 v31, v52, v47
	s_delay_alu instid0(VALU_DEP_3) | instskip(NEXT) | instid1(VALU_DEP_1)
	v_add_f32_e32 v8, v8, v10
	v_dual_add_f32 v7, v7, v30 :: v_dual_add_f32 v8, v8, v9
	s_delay_alu instid0(VALU_DEP_1) | instskip(NEXT) | instid1(VALU_DEP_1)
	v_dual_add_f32 v7, v7, v31 :: v_dual_mul_f32 v10, s30, v8
	v_mul_f32_e32 v9, s30, v7
	s_delay_alu instid0(VALU_DEP_1) | instskip(SKIP_1) | instid1(VALU_DEP_1)
	v_fma_f32 v8, s7, v8, -v9
	s_wait_loadcnt 0x0
	v_dual_fmac_f32 v10, s7, v7 :: v_dual_add_f32 v5, v5, v8
	s_delay_alu instid0(VALU_DEP_1)
	v_add_f32_e32 v6, v6, v10
	flat_store_b64 v[3:4], v[5:6]
	s_branch .LBB48_9
.LBB48_16:
	s_endpgm
	.section	.rodata,"a",@progbits
	.p2align	6, 0x0
	.amdhsa_kernel _ZL24rocblas_symm_hemm_kernelILb0ELb0ELi32E19rocblas_complex_numIfEPKPKS1_PKPS1_EvbiiT2_T3_lllSA_lllT4_llli
		.amdhsa_group_segment_fixed_size 16384
		.amdhsa_private_segment_fixed_size 0
		.amdhsa_kernarg_size 384
		.amdhsa_user_sgpr_count 2
		.amdhsa_user_sgpr_dispatch_ptr 0
		.amdhsa_user_sgpr_queue_ptr 0
		.amdhsa_user_sgpr_kernarg_segment_ptr 1
		.amdhsa_user_sgpr_dispatch_id 0
		.amdhsa_user_sgpr_private_segment_size 0
		.amdhsa_wavefront_size32 1
		.amdhsa_uses_dynamic_stack 0
		.amdhsa_enable_private_segment 0
		.amdhsa_system_sgpr_workgroup_id_x 1
		.amdhsa_system_sgpr_workgroup_id_y 1
		.amdhsa_system_sgpr_workgroup_id_z 1
		.amdhsa_system_sgpr_workgroup_info 0
		.amdhsa_system_vgpr_workitem_id 1
		.amdhsa_next_free_vgpr 139
		.amdhsa_next_free_sgpr 40
		.amdhsa_reserve_vcc 1
		.amdhsa_float_round_mode_32 0
		.amdhsa_float_round_mode_16_64 0
		.amdhsa_float_denorm_mode_32 3
		.amdhsa_float_denorm_mode_16_64 3
		.amdhsa_fp16_overflow 0
		.amdhsa_workgroup_processor_mode 1
		.amdhsa_memory_ordered 1
		.amdhsa_forward_progress 1
		.amdhsa_inst_pref_size 20
		.amdhsa_round_robin_scheduling 0
		.amdhsa_exception_fp_ieee_invalid_op 0
		.amdhsa_exception_fp_denorm_src 0
		.amdhsa_exception_fp_ieee_div_zero 0
		.amdhsa_exception_fp_ieee_overflow 0
		.amdhsa_exception_fp_ieee_underflow 0
		.amdhsa_exception_fp_ieee_inexact 0
		.amdhsa_exception_int_div_zero 0
	.end_amdhsa_kernel
	.section	.text._ZL24rocblas_symm_hemm_kernelILb0ELb0ELi32E19rocblas_complex_numIfEPKPKS1_PKPS1_EvbiiT2_T3_lllSA_lllT4_llli,"axG",@progbits,_ZL24rocblas_symm_hemm_kernelILb0ELb0ELi32E19rocblas_complex_numIfEPKPKS1_PKPS1_EvbiiT2_T3_lllSA_lllT4_llli,comdat
.Lfunc_end48:
	.size	_ZL24rocblas_symm_hemm_kernelILb0ELb0ELi32E19rocblas_complex_numIfEPKPKS1_PKPS1_EvbiiT2_T3_lllSA_lllT4_llli, .Lfunc_end48-_ZL24rocblas_symm_hemm_kernelILb0ELb0ELi32E19rocblas_complex_numIfEPKPKS1_PKPS1_EvbiiT2_T3_lllSA_lllT4_llli
                                        ; -- End function
	.set _ZL24rocblas_symm_hemm_kernelILb0ELb0ELi32E19rocblas_complex_numIfEPKPKS1_PKPS1_EvbiiT2_T3_lllSA_lllT4_llli.num_vgpr, 139
	.set _ZL24rocblas_symm_hemm_kernelILb0ELb0ELi32E19rocblas_complex_numIfEPKPKS1_PKPS1_EvbiiT2_T3_lllSA_lllT4_llli.num_agpr, 0
	.set _ZL24rocblas_symm_hemm_kernelILb0ELb0ELi32E19rocblas_complex_numIfEPKPKS1_PKPS1_EvbiiT2_T3_lllSA_lllT4_llli.numbered_sgpr, 40
	.set _ZL24rocblas_symm_hemm_kernelILb0ELb0ELi32E19rocblas_complex_numIfEPKPKS1_PKPS1_EvbiiT2_T3_lllSA_lllT4_llli.num_named_barrier, 0
	.set _ZL24rocblas_symm_hemm_kernelILb0ELb0ELi32E19rocblas_complex_numIfEPKPKS1_PKPS1_EvbiiT2_T3_lllSA_lllT4_llli.private_seg_size, 0
	.set _ZL24rocblas_symm_hemm_kernelILb0ELb0ELi32E19rocblas_complex_numIfEPKPKS1_PKPS1_EvbiiT2_T3_lllSA_lllT4_llli.uses_vcc, 1
	.set _ZL24rocblas_symm_hemm_kernelILb0ELb0ELi32E19rocblas_complex_numIfEPKPKS1_PKPS1_EvbiiT2_T3_lllSA_lllT4_llli.uses_flat_scratch, 0
	.set _ZL24rocblas_symm_hemm_kernelILb0ELb0ELi32E19rocblas_complex_numIfEPKPKS1_PKPS1_EvbiiT2_T3_lllSA_lllT4_llli.has_dyn_sized_stack, 0
	.set _ZL24rocblas_symm_hemm_kernelILb0ELb0ELi32E19rocblas_complex_numIfEPKPKS1_PKPS1_EvbiiT2_T3_lllSA_lllT4_llli.has_recursion, 0
	.set _ZL24rocblas_symm_hemm_kernelILb0ELb0ELi32E19rocblas_complex_numIfEPKPKS1_PKPS1_EvbiiT2_T3_lllSA_lllT4_llli.has_indirect_call, 0
	.section	.AMDGPU.csdata,"",@progbits
; Kernel info:
; codeLenInByte = 2488
; TotalNumSgprs: 42
; NumVgprs: 139
; ScratchSize: 0
; MemoryBound: 0
; FloatMode: 240
; IeeeMode: 1
; LDSByteSize: 16384 bytes/workgroup (compile time only)
; SGPRBlocks: 0
; VGPRBlocks: 17
; NumSGPRsForWavesPerEU: 42
; NumVGPRsForWavesPerEU: 139
; Occupancy: 10
; WaveLimiterHint : 1
; COMPUTE_PGM_RSRC2:SCRATCH_EN: 0
; COMPUTE_PGM_RSRC2:USER_SGPR: 2
; COMPUTE_PGM_RSRC2:TRAP_HANDLER: 0
; COMPUTE_PGM_RSRC2:TGID_X_EN: 1
; COMPUTE_PGM_RSRC2:TGID_Y_EN: 1
; COMPUTE_PGM_RSRC2:TGID_Z_EN: 1
; COMPUTE_PGM_RSRC2:TIDIG_COMP_CNT: 1
	.section	.text._ZL24rocblas_symm_hemm_kernelILb0ELb1ELi32E19rocblas_complex_numIfEPKPKS1_PKPS1_EvbiiT2_T3_lllSA_lllT4_llli,"axG",@progbits,_ZL24rocblas_symm_hemm_kernelILb0ELb1ELi32E19rocblas_complex_numIfEPKPKS1_PKPS1_EvbiiT2_T3_lllSA_lllT4_llli,comdat
	.globl	_ZL24rocblas_symm_hemm_kernelILb0ELb1ELi32E19rocblas_complex_numIfEPKPKS1_PKPS1_EvbiiT2_T3_lllSA_lllT4_llli ; -- Begin function _ZL24rocblas_symm_hemm_kernelILb0ELb1ELi32E19rocblas_complex_numIfEPKPKS1_PKPS1_EvbiiT2_T3_lllSA_lllT4_llli
	.p2align	8
	.type	_ZL24rocblas_symm_hemm_kernelILb0ELb1ELi32E19rocblas_complex_numIfEPKPKS1_PKPS1_EvbiiT2_T3_lllSA_lllT4_llli,@function
_ZL24rocblas_symm_hemm_kernelILb0ELb1ELi32E19rocblas_complex_numIfEPKPKS1_PKPS1_EvbiiT2_T3_lllSA_lllT4_llli: ; @_ZL24rocblas_symm_hemm_kernelILb0ELb1ELi32E19rocblas_complex_numIfEPKPKS1_PKPS1_EvbiiT2_T3_lllSA_lllT4_llli
; %bb.0:
	s_clause 0x1
	s_load_b128 s[4:7], s[0:1], 0x0
	s_load_b32 s28, s[0:1], 0x10
	s_wait_kmcnt 0x0
	s_cmp_eq_f32 s7, 0
	s_cselect_b32 s2, -1, 0
	s_cmp_eq_f32 s28, 0
	s_cselect_b32 s3, -1, 0
	s_delay_alu instid0(SALU_CYCLE_1) | instskip(NEXT) | instid1(SALU_CYCLE_1)
	s_and_b32 s2, s2, s3
	s_and_b32 vcc_lo, exec_lo, s2
	s_cbranch_vccnz .LBB49_16
; %bb.1:
	s_load_b32 s29, s[0:1], 0x78
	s_lshr_b32 s20, ttmp7, 16
	s_wait_kmcnt 0x0
	s_cmp_ge_u32 s20, s29
	s_cbranch_scc1 .LBB49_16
; %bb.2:
	s_clause 0x5
	s_load_b128 s[8:11], s[0:1], 0x18
	s_load_b64 s[22:23], s[0:1], 0x28
	s_load_b128 s[12:15], s[0:1], 0x38
	s_load_b64 s[24:25], s[0:1], 0x48
	s_load_b64 s[26:27], s[0:1], 0x68
	s_load_b128 s[16:19], s[0:1], 0x58
	v_dual_mov_b32 v16, 0 :: v_dual_and_b32 v11, 0x3ff, v0
	v_bfe_u32 v10, v0, 10, 10
	s_bitcmp1_b32 s4, 0
	s_mov_b32 s21, 0
	s_cselect_b32 s2, -1, 0
	s_add_co_i32 s3, s6, -1
	v_lshl_add_u32 v0, ttmp9, 5, v11
	v_lshlrev_b32_e32 v2, 3, v10
	s_ashr_i32 s4, s3, 31
	v_lshlrev_b32_e32 v12, 8, v11
	s_lshr_b32 s4, s4, 27
	v_ashrrev_i32_e32 v1, 31, v0
	s_add_co_i32 s3, s3, s4
	v_or_b32_e32 v13, 0x2000, v2
	s_and_b32 s30, ttmp7, 0xffff
	s_ashr_i32 s31, s3, 5
	v_cmp_gt_i32_e64 s3, s5, v0
	s_cmp_le_i32 s30, s31
	v_lshlrev_b64_e32 v[0:1], 3, v[0:1]
	v_add_nc_u32_e32 v14, v12, v2
	v_add_nc_u32_e32 v15, v13, v12
	;; [unrolled: 1-line block ×5, first 2 shown]
	s_cselect_b32 s33, -1, 0
	s_cmp_gt_i32 s6, 0
	s_add_nc_u64 s[4:5], s[0:1], 0x80
	s_cselect_b32 s1, -1, 0
	s_wait_kmcnt 0x0
	s_lshl_b64 s[10:11], s[10:11], 3
	s_lshl_b64 s[18:19], s[18:19], 3
	;; [unrolled: 1-line block ×3, first 2 shown]
	s_branch .LBB49_4
.LBB49_3:                               ;   in Loop: Header=BB49_4 Depth=1
	s_add_co_i32 s20, s20, 0x10000
	s_delay_alu instid0(SALU_CYCLE_1)
	s_cmp_lt_u32 s20, s29
	s_cbranch_scc0 .LBB49_16
.LBB49_4:                               ; =>This Loop Header: Depth=1
                                        ;     Child Loop BB49_7 Depth 2
                                        ;       Child Loop BB49_10 Depth 3
	s_and_not1_b32 vcc_lo, exec_lo, s33
	s_wait_alu 0xfffe
	s_cbranch_vccnz .LBB49_3
; %bb.5:                                ;   in Loop: Header=BB49_4 Depth=1
	s_lshl_b64 s[34:35], s[20:21], 3
	s_wait_alu 0xfffe
	s_add_nc_u64 s[36:37], s[8:9], s[34:35]
	global_load_b64 v[2:3], v16, s[36:37]
	s_add_nc_u64 s[36:37], s[12:13], s[34:35]
	s_add_nc_u64 s[34:35], s[16:17], s[34:35]
	s_clause 0x1
	global_load_b64 v[4:5], v16, s[36:37]
	global_load_b64 v[6:7], v16, s[34:35]
	s_load_b32 s34, s[4:5], 0x4
	s_mov_b32 s35, s30
	s_wait_loadcnt 0x2
	v_add_co_u32 v20, vcc_lo, v2, s10
	s_wait_alu 0xfffd
	v_add_co_ci_u32_e64 v21, null, s11, v3, vcc_lo
	s_wait_loadcnt 0x1
	v_add_co_u32 v2, vcc_lo, v4, s14
	s_wait_alu 0xfffd
	v_add_co_ci_u32_e64 v3, null, s15, v5, vcc_lo
	;; [unrolled: 4-line block ×3, first 2 shown]
	v_add_co_u32 v22, vcc_lo, v2, v0
	s_wait_alu 0xfffd
	v_add_co_ci_u32_e64 v23, null, v3, v1, vcc_lo
	v_add_co_u32 v24, vcc_lo, v4, v0
	s_wait_alu 0xfffd
	v_add_co_ci_u32_e64 v25, null, v5, v1, vcc_lo
	s_branch .LBB49_7
.LBB49_6:                               ;   in Loop: Header=BB49_7 Depth=2
	s_wait_kmcnt 0x0
	s_add_co_i32 s35, s35, s34
	s_wait_alu 0xfffe
	s_cmp_gt_i32 s35, s31
	s_cbranch_scc1 .LBB49_3
.LBB49_7:                               ;   Parent Loop BB49_4 Depth=1
                                        ; =>  This Loop Header: Depth=2
                                        ;       Child Loop BB49_10 Depth 3
	s_and_not1_b32 vcc_lo, exec_lo, s1
	s_wait_alu 0xfffe
	s_cbranch_vccnz .LBB49_6
; %bb.8:                                ;   in Loop: Header=BB49_7 Depth=2
	v_lshl_add_u32 v26, s35, 5, v10
	s_mov_b32 s36, 0
	s_delay_alu instid0(VALU_DEP_1) | instskip(SKIP_3) | instid1(VALU_DEP_4)
	v_ashrrev_i32_e32 v4, 31, v26
	v_mul_lo_u32 v5, s27, v26
	v_mad_co_u64_u32 v[2:3], null, s26, v26, 0
	v_cmp_gt_i32_e32 vcc_lo, s6, v26
	v_mul_lo_u32 v4, s26, v4
	s_delay_alu instid0(VALU_DEP_1) | instskip(NEXT) | instid1(VALU_DEP_1)
	v_add3_u32 v3, v3, v4, v5
	v_lshlrev_b64_e32 v[2:3], 3, v[2:3]
	s_delay_alu instid0(VALU_DEP_1) | instskip(SKIP_1) | instid1(VALU_DEP_2)
	v_add_co_u32 v2, s0, v24, v2
	s_wait_alu 0xf1ff
	v_add_co_ci_u32_e64 v3, null, v25, v3, s0
	s_and_b32 s0, s3, vcc_lo
	s_branch .LBB49_10
.LBB49_9:                               ;   in Loop: Header=BB49_10 Depth=3
	s_wait_alu 0xfffe
	s_or_b32 exec_lo, exec_lo, s37
	s_add_co_i32 s36, s36, 32
	s_wait_storecnt 0x0
	s_wait_loadcnt_dscnt 0x0
	s_wait_alu 0xfffe
	s_cmp_ge_i32 s36, s6
	s_barrier_signal -1
	s_barrier_wait -1
	global_inv scope:SCOPE_SE
	s_cbranch_scc1 .LBB49_6
.LBB49_10:                              ;   Parent Loop BB49_4 Depth=1
                                        ;     Parent Loop BB49_7 Depth=2
                                        ; =>    This Inner Loop Header: Depth=3
	s_wait_alu 0xfffe
	v_dual_mov_b32 v4, 0 :: v_dual_add_nc_u32 v5, s36, v10
	v_dual_mov_b32 v6, 0 :: v_dual_mov_b32 v7, 0
	s_delay_alu instid0(VALU_DEP_2) | instskip(SKIP_1) | instid1(SALU_CYCLE_1)
	v_cmp_gt_i32_e32 vcc_lo, s6, v5
	s_and_b32 s38, s3, vcc_lo
	s_and_saveexec_b32 s37, s38
	s_cbranch_execz .LBB49_12
; %bb.11:                               ;   in Loop: Header=BB49_10 Depth=3
	v_ashrrev_i32_e32 v7, 31, v5
	v_mul_lo_u32 v8, s25, v5
	v_mad_co_u64_u32 v[5:6], null, s24, v5, 0
	s_delay_alu instid0(VALU_DEP_3) | instskip(NEXT) | instid1(VALU_DEP_1)
	v_mul_lo_u32 v7, s24, v7
	v_add3_u32 v6, v6, v7, v8
	s_delay_alu instid0(VALU_DEP_1) | instskip(NEXT) | instid1(VALU_DEP_1)
	v_lshlrev_b64_e32 v[5:6], 3, v[5:6]
	v_add_co_u32 v5, vcc_lo, v22, v5
	s_wait_alu 0xfffd
	s_delay_alu instid0(VALU_DEP_2)
	v_add_co_ci_u32_e64 v6, null, v23, v6, vcc_lo
	flat_load_b64 v[6:7], v[5:6]
.LBB49_12:                              ;   in Loop: Header=BB49_10 Depth=3
	s_wait_alu 0xfffe
	s_or_b32 exec_lo, exec_lo, s37
	v_add_nc_u32_e32 v5, s36, v11
	s_wait_loadcnt_dscnt 0x0
	ds_store_b64 v14, v[6:7]
	v_cndmask_b32_e64 v8, v26, v5, s2
	v_cndmask_b32_e64 v9, v5, v26, s2
	s_delay_alu instid0(VALU_DEP_1) | instskip(SKIP_2) | instid1(VALU_DEP_1)
	v_cmp_gt_i32_e32 vcc_lo, v8, v9
	s_wait_alu 0xfffd
	v_dual_cndmask_b32 v8, v5, v26 :: v_dual_cndmask_b32 v9, v26, v5
	v_max_i32_e32 v5, v8, v9
	s_delay_alu instid0(VALU_DEP_1)
	v_cmp_gt_i32_e32 vcc_lo, s6, v5
	v_mov_b32_e32 v5, 0
	s_and_saveexec_b32 s37, vcc_lo
	s_cbranch_execz .LBB49_14
; %bb.13:                               ;   in Loop: Header=BB49_10 Depth=3
	v_ashrrev_i32_e32 v6, 31, v9
	v_mul_lo_u32 v7, s23, v9
	v_mad_co_u64_u32 v[4:5], null, s22, v9, 0
	v_ashrrev_i32_e32 v9, 31, v8
	s_delay_alu instid0(VALU_DEP_4) | instskip(NEXT) | instid1(VALU_DEP_1)
	v_mul_lo_u32 v6, s22, v6
	v_add3_u32 v5, v5, v6, v7
	s_delay_alu instid0(VALU_DEP_3) | instskip(NEXT) | instid1(VALU_DEP_2)
	v_lshlrev_b64_e32 v[6:7], 3, v[8:9]
	v_lshlrev_b64_e32 v[4:5], 3, v[4:5]
	s_delay_alu instid0(VALU_DEP_1) | instskip(SKIP_1) | instid1(VALU_DEP_2)
	v_add_co_u32 v4, vcc_lo, v20, v4
	s_wait_alu 0xfffd
	v_add_co_ci_u32_e64 v5, null, v21, v5, vcc_lo
	s_delay_alu instid0(VALU_DEP_2) | instskip(SKIP_1) | instid1(VALU_DEP_2)
	v_add_co_u32 v4, vcc_lo, v4, v6
	s_wait_alu 0xfffd
	v_add_co_ci_u32_e64 v5, null, v5, v7, vcc_lo
	flat_load_b64 v[4:5], v[4:5]
.LBB49_14:                              ;   in Loop: Header=BB49_10 Depth=3
	s_wait_alu 0xfffe
	s_or_b32 exec_lo, exec_lo, s37
	s_wait_loadcnt_dscnt 0x0
	ds_store_b64 v15, v[4:5]
	s_wait_dscnt 0x0
	s_barrier_signal -1
	s_barrier_wait -1
	global_inv scope:SCOPE_SE
	s_and_saveexec_b32 s37, s0
	s_cbranch_execz .LBB49_9
; %bb.15:                               ;   in Loop: Header=BB49_10 Depth=3
	flat_load_b64 v[4:5], v[2:3]
	ds_load_2addr_b64 v[6:9], v13 offset1:32
	ds_load_b128 v[27:30], v12
	ds_load_b128 v[31:34], v12 offset:16
	ds_load_b128 v[35:38], v12 offset:32
	;; [unrolled: 1-line block ×3, first 2 shown]
	ds_load_2addr_b64 v[43:46], v13 offset0:64 offset1:96
	ds_load_2addr_b64 v[47:50], v13 offset0:128 offset1:160
	;; [unrolled: 1-line block ×3, first 2 shown]
	ds_load_2addr_b64 v[55:58], v17 offset1:32
	ds_load_b128 v[59:62], v12 offset:64
	ds_load_b128 v[63:66], v12 offset:80
	ds_load_2addr_b64 v[67:70], v17 offset0:64 offset1:96
	ds_load_2addr_b64 v[71:74], v17 offset0:128 offset1:160
	ds_load_b128 v[75:78], v12 offset:96
	ds_load_b128 v[79:82], v12 offset:112
	ds_load_2addr_b64 v[83:86], v17 offset0:192 offset1:224
	ds_load_2addr_b64 v[87:90], v18 offset1:32
	ds_load_b128 v[91:94], v12 offset:128
	ds_load_b128 v[95:98], v12 offset:144
	ds_load_2addr_b64 v[99:102], v18 offset0:64 offset1:96
	ds_load_2addr_b64 v[103:106], v18 offset0:128 offset1:160
	ds_load_b128 v[107:110], v12 offset:160
	ds_load_b128 v[111:114], v12 offset:176
	ds_load_2addr_b64 v[115:118], v18 offset0:192 offset1:224
	ds_load_2addr_b64 v[119:122], v19 offset1:32
	s_wait_dscnt 0x17
	v_mul_f32_e32 v123, v7, v28
	v_dual_mul_f32 v124, v6, v28 :: v_dual_mul_f32 v125, v8, v30
	v_mul_f32_e32 v28, v9, v30
	s_wait_dscnt 0x13
	v_mul_f32_e32 v30, v44, v32
	s_wait_dscnt 0x12
	v_dual_mul_f32 v128, v45, v34 :: v_dual_mul_f32 v129, v47, v36
	v_mul_f32_e32 v126, v43, v32
	v_dual_mul_f32 v32, v46, v34 :: v_dual_fmac_f32 v125, v9, v29
	v_fma_f32 v131, v43, v31, -v30
	v_mul_f32_e32 v34, v48, v36
	s_wait_dscnt 0x11
	v_dual_mul_f32 v36, v50, v38 :: v_dual_mul_f32 v135, v51, v40
	v_fma_f32 v127, v8, v29, -v28
	v_mul_f32_e32 v130, v49, v38
	v_fma_f32 v133, v47, v35, -v34
	s_delay_alu instid0(VALU_DEP_4)
	v_fma_f32 v134, v49, v37, -v36
	v_dual_mul_f32 v36, v54, v42 :: v_dual_fmac_f32 v129, v48, v35
	v_fmac_f32_e32 v126, v44, v31
	v_dual_mul_f32 v35, v52, v40 :: v_dual_mul_f32 v136, v53, v42
	s_wait_dscnt 0xf
	v_mul_f32_e32 v40, v56, v60
	v_fmac_f32_e32 v135, v52, v39
	v_fma_f32 v52, v53, v41, -v36
	v_mul_f32_e32 v53, v55, v60
	v_fma_f32 v123, v6, v27, -v123
	v_fmac_f32_e32 v124, v7, v27
	v_fma_f32 v132, v45, v33, -v32
	s_delay_alu instid0(VALU_DEP_4)
	v_dual_fmac_f32 v130, v50, v37 :: v_dual_fmac_f32 v53, v56, v59
	v_fma_f32 v51, v51, v39, -v35
	v_mul_f32_e32 v39, v58, v62
	v_fma_f32 v55, v55, v59, -v40
	s_wait_dscnt 0xd
	v_dual_mul_f32 v59, v68, v64 :: v_dual_fmac_f32 v136, v54, v41
	v_mul_f32_e32 v54, v57, v62
	v_mul_f32_e32 v60, v67, v64
	v_add_f32_e32 v40, 0, v123
	v_fma_f32 v56, v57, v61, -v39
	v_mul_f32_e32 v62, v69, v66
	v_fma_f32 v59, v67, v63, -v59
	s_wait_dscnt 0xb
	v_dual_fmac_f32 v60, v68, v63 :: v_dual_mul_f32 v63, v71, v76
	s_wait_dscnt 0x9
	v_dual_fmac_f32 v54, v58, v61 :: v_dual_mul_f32 v67, v84, v80
	v_mul_f32_e32 v61, v70, v66
	v_fmac_f32_e32 v62, v70, v65
	v_dual_fmac_f32 v128, v46, v33 :: v_dual_add_f32 v41, 0, v124
	ds_load_b128 v[6:9], v12 offset:192
	ds_load_b128 v[27:30], v12 offset:208
	v_fma_f32 v61, v69, v65, -v61
	v_mul_f32_e32 v65, v74, v78
	v_dual_add_f32 v57, v40, v127 :: v_dual_add_f32 v58, v41, v125
	v_mul_f32_e32 v69, v86, v82
	ds_load_2addr_b64 v[31:34], v19 offset0:64 offset1:96
	ds_load_2addr_b64 v[35:38], v19 offset0:128 offset1:160
	v_add_f32_e32 v57, v57, v131
	ds_load_b128 v[39:42], v12 offset:224
	ds_load_b128 v[43:46], v12 offset:240
	ds_load_2addr_b64 v[47:50], v19 offset0:192 offset1:224
	v_fmac_f32_e32 v63, v72, v75
	v_dual_add_f32 v57, v57, v132 :: v_dual_add_f32 v58, v58, v126
	s_delay_alu instid0(VALU_DEP_1) | instskip(NEXT) | instid1(VALU_DEP_1)
	v_add_f32_e32 v57, v57, v133
	v_dual_add_f32 v57, v57, v134 :: v_dual_add_f32 v58, v58, v128
	s_delay_alu instid0(VALU_DEP_1) | instskip(SKIP_2) | instid1(VALU_DEP_2)
	v_dual_add_f32 v51, v57, v51 :: v_dual_add_f32 v58, v58, v129
	s_wait_dscnt 0xe
	v_mul_f32_e32 v57, v87, v92
	v_add_f32_e32 v51, v51, v52
	s_wait_dscnt 0xc
	v_mul_f32_e32 v52, v100, v96
	s_delay_alu instid0(VALU_DEP_3) | instskip(NEXT) | instid1(VALU_DEP_3)
	v_fmac_f32_e32 v57, v88, v91
	v_add_f32_e32 v51, v51, v55
	v_mul_f32_e32 v55, v101, v98
	v_add_f32_e32 v58, v58, v130
	v_mul_f32_e32 v66, v73, v78
	s_delay_alu instid0(VALU_DEP_4) | instskip(SKIP_1) | instid1(VALU_DEP_4)
	v_dual_mul_f32 v78, v90, v94 :: v_dual_add_f32 v51, v51, v56
	v_mul_f32_e32 v70, v85, v82
	v_add_f32_e32 v58, v58, v135
	v_fmac_f32_e32 v55, v102, v97
	s_delay_alu instid0(VALU_DEP_4) | instskip(SKIP_3) | instid1(VALU_DEP_3)
	v_add_f32_e32 v51, v51, v59
	s_wait_dscnt 0x8
	v_mul_f32_e32 v59, v115, v112
	v_add_f32_e32 v58, v58, v136
	v_dual_mul_f32 v64, v72, v76 :: v_dual_add_f32 v51, v51, v61
	v_mul_f32_e32 v61, v118, v114
	s_delay_alu instid0(VALU_DEP_3) | instskip(SKIP_3) | instid1(VALU_DEP_4)
	v_dual_add_f32 v53, v58, v53 :: v_dual_mul_f32 v68, v83, v80
	v_mul_f32_e32 v80, v89, v94
	v_mul_f32_e32 v94, v103, v108
	v_fma_f32 v52, v99, v95, -v52
	v_dual_add_f32 v53, v53, v54 :: v_dual_fmac_f32 v68, v84, v79
	s_delay_alu instid0(VALU_DEP_4) | instskip(NEXT) | instid1(VALU_DEP_2)
	v_fmac_f32_e32 v80, v90, v93
	v_dual_fmac_f32 v94, v104, v107 :: v_dual_add_f32 v53, v53, v60
	v_fma_f32 v60, v71, v75, -v64
	v_mul_f32_e32 v76, v88, v92
	v_mul_f32_e32 v92, v102, v98
	v_fma_f32 v64, v85, v81, -v69
	v_add_f32_e32 v53, v53, v62
	v_fma_f32 v62, v73, v77, -v65
	v_add_f32_e32 v51, v51, v60
	v_mul_f32_e32 v58, v104, v108
	v_fma_f32 v65, v89, v93, -v78
	v_add_f32_e32 v53, v53, v63
	v_fma_f32 v63, v83, v79, -v67
	v_add_f32_e32 v51, v51, v62
	v_mul_f32_e32 v56, v105, v110
	s_wait_dscnt 0x6
	v_mul_f32_e32 v62, v120, v7
	v_mul_f32_e32 v7, v119, v7
	v_dual_add_f32 v51, v51, v63 :: v_dual_mul_f32 v60, v117, v114
	v_fma_f32 v63, v87, v91, -v76
	s_delay_alu instid0(VALU_DEP_3) | instskip(NEXT) | instid1(VALU_DEP_3)
	v_dual_fmac_f32 v56, v106, v109 :: v_dual_fmac_f32 v7, v120, v6
	v_dual_add_f32 v51, v51, v64 :: v_dual_fmac_f32 v70, v86, v81
	s_delay_alu instid0(VALU_DEP_4) | instskip(NEXT) | instid1(VALU_DEP_2)
	v_dual_fmac_f32 v60, v118, v113 :: v_dual_fmac_f32 v59, v116, v111
	v_dual_add_f32 v51, v51, v63 :: v_dual_fmac_f32 v66, v74, v77
	v_mul_f32_e32 v82, v99, v96
	v_fma_f32 v63, v101, v97, -v92
	s_delay_alu instid0(VALU_DEP_3) | instskip(NEXT) | instid1(VALU_DEP_4)
	v_dual_mul_f32 v96, v116, v112 :: v_dual_add_f32 v51, v51, v65
	v_add_f32_e32 v53, v53, v66
	v_mul_f32_e32 v54, v106, v110
	s_delay_alu instid0(VALU_DEP_3) | instskip(NEXT) | instid1(VALU_DEP_3)
	v_dual_fmac_f32 v82, v100, v95 :: v_dual_add_f32 v51, v51, v52
	v_add_f32_e32 v53, v53, v68
	v_fma_f32 v52, v103, v107, -v58
	s_delay_alu instid0(VALU_DEP_4) | instskip(NEXT) | instid1(VALU_DEP_4)
	v_fma_f32 v54, v105, v109, -v54
	v_add_f32_e32 v51, v51, v63
	s_delay_alu instid0(VALU_DEP_4) | instskip(NEXT) | instid1(VALU_DEP_1)
	v_add_f32_e32 v53, v53, v70
	v_add_f32_e32 v53, v53, v57
	s_wait_dscnt 0x4
	v_dual_mul_f32 v57, v32, v28 :: v_dual_mul_f32 v64, v122, v9
	v_dual_mul_f32 v9, v121, v9 :: v_dual_mul_f32 v28, v31, v28
	s_delay_alu instid0(VALU_DEP_3) | instskip(NEXT) | instid1(VALU_DEP_3)
	v_add_f32_e32 v53, v53, v80
	v_fma_f32 v31, v31, v27, -v57
	s_delay_alu instid0(VALU_DEP_3) | instskip(NEXT) | instid1(VALU_DEP_3)
	v_dual_fmac_f32 v9, v122, v8 :: v_dual_fmac_f32 v28, v32, v27
	v_add_f32_e32 v53, v53, v82
	s_delay_alu instid0(VALU_DEP_1) | instskip(SKIP_3) | instid1(VALU_DEP_2)
	v_add_f32_e32 v53, v53, v55
	v_mul_f32_e32 v55, v34, v30
	v_dual_mul_f32 v30, v33, v30 :: v_dual_add_f32 v51, v51, v52
	v_fma_f32 v52, v115, v111, -v96
	v_dual_fmac_f32 v30, v34, v29 :: v_dual_add_f32 v51, v51, v54
	s_wait_dscnt 0x2
	v_dual_mul_f32 v54, v36, v40 :: v_dual_add_f32 v53, v53, v94
	v_mul_f32_e32 v40, v35, v40
	v_fma_f32 v27, v33, v29, -v55
	v_add_f32_e32 v51, v51, v52
	v_fma_f32 v52, v119, v6, -v62
	v_add_f32_e32 v53, v53, v56
	v_fma_f32 v56, v117, v113, -v61
	v_fmac_f32_e32 v40, v36, v39
	v_fma_f32 v29, v35, v39, -v54
	s_delay_alu instid0(VALU_DEP_4) | instskip(NEXT) | instid1(VALU_DEP_4)
	v_add_f32_e32 v53, v53, v59
	v_add_f32_e32 v51, v51, v56
	v_fma_f32 v56, v121, v8, -v64
	v_mul_f32_e32 v8, v37, v42
	s_delay_alu instid0(VALU_DEP_4) | instskip(NEXT) | instid1(VALU_DEP_2)
	v_dual_add_f32 v6, v53, v60 :: v_dual_mul_f32 v53, v38, v42
	v_fmac_f32_e32 v8, v38, v41
	s_delay_alu instid0(VALU_DEP_2) | instskip(NEXT) | instid1(VALU_DEP_1)
	v_add_f32_e32 v6, v6, v7
	v_add_f32_e32 v6, v6, v9
	s_delay_alu instid0(VALU_DEP_1) | instskip(SKIP_3) | instid1(VALU_DEP_2)
	v_add_f32_e32 v6, v6, v28
	v_add_f32_e32 v7, v51, v52
	s_wait_dscnt 0x0
	v_mul_f32_e32 v28, v47, v44
	v_dual_add_f32 v6, v6, v30 :: v_dual_add_f32 v7, v7, v56
	s_delay_alu instid0(VALU_DEP_2) | instskip(SKIP_1) | instid1(VALU_DEP_3)
	v_fmac_f32_e32 v28, v48, v43
	v_fma_f32 v30, v37, v41, -v53
	v_dual_add_f32 v6, v6, v40 :: v_dual_add_f32 v7, v7, v31
	s_delay_alu instid0(VALU_DEP_1) | instskip(SKIP_1) | instid1(VALU_DEP_2)
	v_dual_add_f32 v6, v6, v8 :: v_dual_add_f32 v7, v7, v27
	v_mul_f32_e32 v27, v50, v46
	v_dual_add_f32 v6, v6, v28 :: v_dual_add_f32 v7, v7, v29
	v_mul_f32_e32 v29, v49, v46
	s_delay_alu instid0(VALU_DEP_3) | instskip(NEXT) | instid1(VALU_DEP_3)
	v_fma_f32 v8, v49, v45, -v27
	v_add_f32_e32 v7, v7, v30
	s_delay_alu instid0(VALU_DEP_3) | instskip(NEXT) | instid1(VALU_DEP_1)
	v_fmac_f32_e32 v29, v50, v45
	v_dual_mul_f32 v9, v48, v44 :: v_dual_add_f32 v6, v6, v29
	s_delay_alu instid0(VALU_DEP_1) | instskip(NEXT) | instid1(VALU_DEP_1)
	v_fma_f32 v9, v47, v43, -v9
	v_add_f32_e32 v7, v7, v9
	s_delay_alu instid0(VALU_DEP_1) | instskip(NEXT) | instid1(VALU_DEP_1)
	v_dual_add_f32 v7, v7, v8 :: v_dual_mul_f32 v8, s28, v6
	v_mul_f32_e32 v9, s28, v7
	s_delay_alu instid0(VALU_DEP_2) | instskip(SKIP_1) | instid1(VALU_DEP_1)
	v_fma_f32 v7, s7, v7, -v8
	s_wait_loadcnt 0x0
	v_dual_fmac_f32 v9, s7, v6 :: v_dual_add_f32 v4, v4, v7
	s_delay_alu instid0(VALU_DEP_1)
	v_add_f32_e32 v5, v5, v9
	flat_store_b64 v[2:3], v[4:5]
	s_branch .LBB49_9
.LBB49_16:
	s_endpgm
	.section	.rodata,"a",@progbits
	.p2align	6, 0x0
	.amdhsa_kernel _ZL24rocblas_symm_hemm_kernelILb0ELb1ELi32E19rocblas_complex_numIfEPKPKS1_PKPS1_EvbiiT2_T3_lllSA_lllT4_llli
		.amdhsa_group_segment_fixed_size 16384
		.amdhsa_private_segment_fixed_size 0
		.amdhsa_kernarg_size 384
		.amdhsa_user_sgpr_count 2
		.amdhsa_user_sgpr_dispatch_ptr 0
		.amdhsa_user_sgpr_queue_ptr 0
		.amdhsa_user_sgpr_kernarg_segment_ptr 1
		.amdhsa_user_sgpr_dispatch_id 0
		.amdhsa_user_sgpr_private_segment_size 0
		.amdhsa_wavefront_size32 1
		.amdhsa_uses_dynamic_stack 0
		.amdhsa_enable_private_segment 0
		.amdhsa_system_sgpr_workgroup_id_x 1
		.amdhsa_system_sgpr_workgroup_id_y 1
		.amdhsa_system_sgpr_workgroup_id_z 1
		.amdhsa_system_sgpr_workgroup_info 0
		.amdhsa_system_vgpr_workitem_id 1
		.amdhsa_next_free_vgpr 137
		.amdhsa_next_free_sgpr 39
		.amdhsa_reserve_vcc 1
		.amdhsa_float_round_mode_32 0
		.amdhsa_float_round_mode_16_64 0
		.amdhsa_float_denorm_mode_32 3
		.amdhsa_float_denorm_mode_16_64 3
		.amdhsa_fp16_overflow 0
		.amdhsa_workgroup_processor_mode 1
		.amdhsa_memory_ordered 1
		.amdhsa_forward_progress 1
		.amdhsa_inst_pref_size 20
		.amdhsa_round_robin_scheduling 0
		.amdhsa_exception_fp_ieee_invalid_op 0
		.amdhsa_exception_fp_denorm_src 0
		.amdhsa_exception_fp_ieee_div_zero 0
		.amdhsa_exception_fp_ieee_overflow 0
		.amdhsa_exception_fp_ieee_underflow 0
		.amdhsa_exception_fp_ieee_inexact 0
		.amdhsa_exception_int_div_zero 0
	.end_amdhsa_kernel
	.section	.text._ZL24rocblas_symm_hemm_kernelILb0ELb1ELi32E19rocblas_complex_numIfEPKPKS1_PKPS1_EvbiiT2_T3_lllSA_lllT4_llli,"axG",@progbits,_ZL24rocblas_symm_hemm_kernelILb0ELb1ELi32E19rocblas_complex_numIfEPKPKS1_PKPS1_EvbiiT2_T3_lllSA_lllT4_llli,comdat
.Lfunc_end49:
	.size	_ZL24rocblas_symm_hemm_kernelILb0ELb1ELi32E19rocblas_complex_numIfEPKPKS1_PKPS1_EvbiiT2_T3_lllSA_lllT4_llli, .Lfunc_end49-_ZL24rocblas_symm_hemm_kernelILb0ELb1ELi32E19rocblas_complex_numIfEPKPKS1_PKPS1_EvbiiT2_T3_lllSA_lllT4_llli
                                        ; -- End function
	.set _ZL24rocblas_symm_hemm_kernelILb0ELb1ELi32E19rocblas_complex_numIfEPKPKS1_PKPS1_EvbiiT2_T3_lllSA_lllT4_llli.num_vgpr, 137
	.set _ZL24rocblas_symm_hemm_kernelILb0ELb1ELi32E19rocblas_complex_numIfEPKPKS1_PKPS1_EvbiiT2_T3_lllSA_lllT4_llli.num_agpr, 0
	.set _ZL24rocblas_symm_hemm_kernelILb0ELb1ELi32E19rocblas_complex_numIfEPKPKS1_PKPS1_EvbiiT2_T3_lllSA_lllT4_llli.numbered_sgpr, 39
	.set _ZL24rocblas_symm_hemm_kernelILb0ELb1ELi32E19rocblas_complex_numIfEPKPKS1_PKPS1_EvbiiT2_T3_lllSA_lllT4_llli.num_named_barrier, 0
	.set _ZL24rocblas_symm_hemm_kernelILb0ELb1ELi32E19rocblas_complex_numIfEPKPKS1_PKPS1_EvbiiT2_T3_lllSA_lllT4_llli.private_seg_size, 0
	.set _ZL24rocblas_symm_hemm_kernelILb0ELb1ELi32E19rocblas_complex_numIfEPKPKS1_PKPS1_EvbiiT2_T3_lllSA_lllT4_llli.uses_vcc, 1
	.set _ZL24rocblas_symm_hemm_kernelILb0ELb1ELi32E19rocblas_complex_numIfEPKPKS1_PKPS1_EvbiiT2_T3_lllSA_lllT4_llli.uses_flat_scratch, 0
	.set _ZL24rocblas_symm_hemm_kernelILb0ELb1ELi32E19rocblas_complex_numIfEPKPKS1_PKPS1_EvbiiT2_T3_lllSA_lllT4_llli.has_dyn_sized_stack, 0
	.set _ZL24rocblas_symm_hemm_kernelILb0ELb1ELi32E19rocblas_complex_numIfEPKPKS1_PKPS1_EvbiiT2_T3_lllSA_lllT4_llli.has_recursion, 0
	.set _ZL24rocblas_symm_hemm_kernelILb0ELb1ELi32E19rocblas_complex_numIfEPKPKS1_PKPS1_EvbiiT2_T3_lllSA_lllT4_llli.has_indirect_call, 0
	.section	.AMDGPU.csdata,"",@progbits
; Kernel info:
; codeLenInByte = 2480
; TotalNumSgprs: 41
; NumVgprs: 137
; ScratchSize: 0
; MemoryBound: 0
; FloatMode: 240
; IeeeMode: 1
; LDSByteSize: 16384 bytes/workgroup (compile time only)
; SGPRBlocks: 0
; VGPRBlocks: 17
; NumSGPRsForWavesPerEU: 41
; NumVGPRsForWavesPerEU: 137
; Occupancy: 10
; WaveLimiterHint : 1
; COMPUTE_PGM_RSRC2:SCRATCH_EN: 0
; COMPUTE_PGM_RSRC2:USER_SGPR: 2
; COMPUTE_PGM_RSRC2:TRAP_HANDLER: 0
; COMPUTE_PGM_RSRC2:TGID_X_EN: 1
; COMPUTE_PGM_RSRC2:TGID_Y_EN: 1
; COMPUTE_PGM_RSRC2:TGID_Z_EN: 1
; COMPUTE_PGM_RSRC2:TIDIG_COMP_CNT: 1
	.section	.text._ZL25rocblas_symm_scale_kernelILi128ELi8EPK19rocblas_complex_numIdEPKPS1_EviiT1_T2_llli,"axG",@progbits,_ZL25rocblas_symm_scale_kernelILi128ELi8EPK19rocblas_complex_numIdEPKPS1_EviiT1_T2_llli,comdat
	.globl	_ZL25rocblas_symm_scale_kernelILi128ELi8EPK19rocblas_complex_numIdEPKPS1_EviiT1_T2_llli ; -- Begin function _ZL25rocblas_symm_scale_kernelILi128ELi8EPK19rocblas_complex_numIdEPKPS1_EviiT1_T2_llli
	.p2align	8
	.type	_ZL25rocblas_symm_scale_kernelILi128ELi8EPK19rocblas_complex_numIdEPKPS1_EviiT1_T2_llli,@function
_ZL25rocblas_symm_scale_kernelILi128ELi8EPK19rocblas_complex_numIdEPKPS1_EviiT1_T2_llli: ; @_ZL25rocblas_symm_scale_kernelILi128ELi8EPK19rocblas_complex_numIdEPKPS1_EviiT1_T2_llli
; %bb.0:
	s_load_b256 s[4:11], s[0:1], 0x8
	s_wait_kmcnt 0x0
	s_load_b128 s[12:15], s[4:5], 0x0
	s_wait_kmcnt 0x0
	v_cmp_eq_f64_e64 s2, s[12:13], 1.0
	v_cmp_eq_f64_e64 s3, s[14:15], 0
	s_and_b32 s2, s2, s3
	s_delay_alu instid0(SALU_CYCLE_1)
	s_and_b32 vcc_lo, exec_lo, s2
	s_cbranch_vccnz .LBB50_9
; %bb.1:
	s_load_b32 s20, s[0:1], 0x30
	s_lshr_b32 s4, ttmp7, 16
	s_wait_kmcnt 0x0
	s_cmp_ge_u32 s4, s20
	s_cbranch_scc1 .LBB50_9
; %bb.2:
	v_bfe_u32 v1, v0, 10, 10
	s_and_b32 s2, ttmp7, 0xffff
	v_cmp_neq_f64_e64 s5, s[12:13], 0
	v_cmp_neq_f64_e64 s18, s[14:15], 0
	v_dual_mov_b32 v5, 0 :: v_dual_and_b32 v0, 0x3ff, v0
	v_lshl_add_u32 v4, s2, 3, v1
	s_load_b64 s[2:3], s[0:1], 0x0
	s_lshl_b64 s[16:17], s[8:9], 4
	s_delay_alu instid0(VALU_DEP_2) | instskip(SKIP_2) | instid1(VALU_DEP_1)
	v_lshl_add_u32 v6, ttmp9, 7, v0
	v_mov_b32_e32 v7, v5
	v_mad_co_u64_u32 v[1:2], null, s10, v4, 0
	v_mad_co_u64_u32 v[2:3], null, s11, v4, v[2:3]
	s_lshl_b64 s[10:11], s[10:11], 4
	s_wait_kmcnt 0x0
	v_cmp_gt_u32_e32 vcc_lo, s2, v6
	v_lshlrev_b64_e32 v[0:1], 4, v[1:2]
	v_lshlrev_b64_e32 v[2:3], 4, v[6:7]
	s_ashr_i32 s9, s3, 31
	s_mov_b32 s8, s3
	s_delay_alu instid0(SALU_CYCLE_1) | instskip(NEXT) | instid1(VALU_DEP_3)
	v_cmp_gt_i64_e64 s3, s[8:9], v[4:5]
	v_add_co_u32 v0, s2, v0, s16
	s_wait_alu 0xf1ff
	v_add_co_ci_u32_e64 v1, null, s17, v1, s2
	s_mov_b32 s17, 0
	v_add_co_u32 v0, s2, v0, v2
	s_wait_alu 0xf1ff
	v_add_co_ci_u32_e64 v10, null, v1, v3, s2
	s_and_b32 s21, vcc_lo, s3
	v_or_b32_e32 v11, 8, v0
	s_or_b32 s22, s5, s18
	s_add_nc_u64 s[2:3], s[0:1], 56
	s_branch .LBB50_4
.LBB50_3:                               ;   in Loop: Header=BB50_4 Depth=1
	s_wait_alu 0xfffe
	s_or_b32 exec_lo, exec_lo, s1
	s_add_co_i32 s4, s4, 0x10000
	s_delay_alu instid0(SALU_CYCLE_1)
	s_cmp_lt_u32 s4, s20
	s_cbranch_scc0 .LBB50_9
.LBB50_4:                               ; =>This Loop Header: Depth=1
                                        ;     Child Loop BB50_7 Depth 2
	s_and_saveexec_b32 s1, s21
	s_cbranch_execz .LBB50_3
; %bb.5:                                ;   in Loop: Header=BB50_4 Depth=1
	s_wait_alu 0xfffe
	s_mov_b32 s5, s17
	s_load_b32 s0, s[2:3], 0x4
	s_lshl_b64 s[18:19], s[4:5], 3
	v_dual_mov_b32 v9, v5 :: v_dual_mov_b32 v8, v4
	s_wait_alu 0xfffe
	s_add_nc_u64 s[18:19], s[6:7], s[18:19]
	s_mov_b32 s5, 0
	s_load_b64 s[18:19], s[18:19], 0x0
	s_wait_kmcnt 0x0
	s_lshl_b32 s16, s0, 3
	v_add_co_u32 v6, vcc_lo, s18, v11
	s_wait_alu 0xfffd
	v_add_co_ci_u32_e64 v7, null, s19, v10, vcc_lo
	s_wait_alu 0xfffe
	s_mul_u64 s[18:19], s[10:11], s[16:17]
	s_branch .LBB50_7
.LBB50_6:                               ;   in Loop: Header=BB50_7 Depth=2
	v_add_co_u32 v8, vcc_lo, v8, s16
	s_wait_alu 0xfffd
	v_add_co_ci_u32_e64 v9, null, 0, v9, vcc_lo
	flat_store_b128 v[6:7], v[0:3] offset:-8
	v_add_co_u32 v6, s0, v6, s18
	v_cmp_le_i64_e32 vcc_lo, s[8:9], v[8:9]
	s_wait_alu 0xf1ff
	v_add_co_ci_u32_e64 v7, null, s19, v7, s0
	s_or_b32 s5, vcc_lo, s5
	s_delay_alu instid0(SALU_CYCLE_1)
	s_and_not1_b32 exec_lo, exec_lo, s5
	s_cbranch_execz .LBB50_3
.LBB50_7:                               ;   Parent Loop BB50_4 Depth=1
                                        ; =>  This Inner Loop Header: Depth=2
	v_mov_b32_e32 v2, 0
	v_dual_mov_b32 v3, 0 :: v_dual_mov_b32 v0, 0
	v_mov_b32_e32 v1, 0
	s_and_not1_b32 vcc_lo, exec_lo, s22
	s_wait_alu 0xfffe
	s_cbranch_vccnz .LBB50_6
; %bb.8:                                ;   in Loop: Header=BB50_7 Depth=2
	flat_load_b128 v[12:15], v[6:7] offset:-8
	s_wait_loadcnt_dscnt 0x0
	v_mul_f64_e32 v[0:1], s[14:15], v[14:15]
	v_mul_f64_e32 v[2:3], s[12:13], v[14:15]
	s_delay_alu instid0(VALU_DEP_2) | instskip(NEXT) | instid1(VALU_DEP_2)
	v_fma_f64 v[0:1], s[12:13], v[12:13], -v[0:1]
	v_fma_f64 v[2:3], s[14:15], v[12:13], v[2:3]
	s_branch .LBB50_6
.LBB50_9:
	s_endpgm
	.section	.rodata,"a",@progbits
	.p2align	6, 0x0
	.amdhsa_kernel _ZL25rocblas_symm_scale_kernelILi128ELi8EPK19rocblas_complex_numIdEPKPS1_EviiT1_T2_llli
		.amdhsa_group_segment_fixed_size 0
		.amdhsa_private_segment_fixed_size 0
		.amdhsa_kernarg_size 312
		.amdhsa_user_sgpr_count 2
		.amdhsa_user_sgpr_dispatch_ptr 0
		.amdhsa_user_sgpr_queue_ptr 0
		.amdhsa_user_sgpr_kernarg_segment_ptr 1
		.amdhsa_user_sgpr_dispatch_id 0
		.amdhsa_user_sgpr_private_segment_size 0
		.amdhsa_wavefront_size32 1
		.amdhsa_uses_dynamic_stack 0
		.amdhsa_enable_private_segment 0
		.amdhsa_system_sgpr_workgroup_id_x 1
		.amdhsa_system_sgpr_workgroup_id_y 1
		.amdhsa_system_sgpr_workgroup_id_z 1
		.amdhsa_system_sgpr_workgroup_info 0
		.amdhsa_system_vgpr_workitem_id 1
		.amdhsa_next_free_vgpr 16
		.amdhsa_next_free_sgpr 23
		.amdhsa_reserve_vcc 1
		.amdhsa_float_round_mode_32 0
		.amdhsa_float_round_mode_16_64 0
		.amdhsa_float_denorm_mode_32 3
		.amdhsa_float_denorm_mode_16_64 3
		.amdhsa_fp16_overflow 0
		.amdhsa_workgroup_processor_mode 1
		.amdhsa_memory_ordered 1
		.amdhsa_forward_progress 1
		.amdhsa_inst_pref_size 5
		.amdhsa_round_robin_scheduling 0
		.amdhsa_exception_fp_ieee_invalid_op 0
		.amdhsa_exception_fp_denorm_src 0
		.amdhsa_exception_fp_ieee_div_zero 0
		.amdhsa_exception_fp_ieee_overflow 0
		.amdhsa_exception_fp_ieee_underflow 0
		.amdhsa_exception_fp_ieee_inexact 0
		.amdhsa_exception_int_div_zero 0
	.end_amdhsa_kernel
	.section	.text._ZL25rocblas_symm_scale_kernelILi128ELi8EPK19rocblas_complex_numIdEPKPS1_EviiT1_T2_llli,"axG",@progbits,_ZL25rocblas_symm_scale_kernelILi128ELi8EPK19rocblas_complex_numIdEPKPS1_EviiT1_T2_llli,comdat
.Lfunc_end50:
	.size	_ZL25rocblas_symm_scale_kernelILi128ELi8EPK19rocblas_complex_numIdEPKPS1_EviiT1_T2_llli, .Lfunc_end50-_ZL25rocblas_symm_scale_kernelILi128ELi8EPK19rocblas_complex_numIdEPKPS1_EviiT1_T2_llli
                                        ; -- End function
	.set _ZL25rocblas_symm_scale_kernelILi128ELi8EPK19rocblas_complex_numIdEPKPS1_EviiT1_T2_llli.num_vgpr, 16
	.set _ZL25rocblas_symm_scale_kernelILi128ELi8EPK19rocblas_complex_numIdEPKPS1_EviiT1_T2_llli.num_agpr, 0
	.set _ZL25rocblas_symm_scale_kernelILi128ELi8EPK19rocblas_complex_numIdEPKPS1_EviiT1_T2_llli.numbered_sgpr, 23
	.set _ZL25rocblas_symm_scale_kernelILi128ELi8EPK19rocblas_complex_numIdEPKPS1_EviiT1_T2_llli.num_named_barrier, 0
	.set _ZL25rocblas_symm_scale_kernelILi128ELi8EPK19rocblas_complex_numIdEPKPS1_EviiT1_T2_llli.private_seg_size, 0
	.set _ZL25rocblas_symm_scale_kernelILi128ELi8EPK19rocblas_complex_numIdEPKPS1_EviiT1_T2_llli.uses_vcc, 1
	.set _ZL25rocblas_symm_scale_kernelILi128ELi8EPK19rocblas_complex_numIdEPKPS1_EviiT1_T2_llli.uses_flat_scratch, 0
	.set _ZL25rocblas_symm_scale_kernelILi128ELi8EPK19rocblas_complex_numIdEPKPS1_EviiT1_T2_llli.has_dyn_sized_stack, 0
	.set _ZL25rocblas_symm_scale_kernelILi128ELi8EPK19rocblas_complex_numIdEPKPS1_EviiT1_T2_llli.has_recursion, 0
	.set _ZL25rocblas_symm_scale_kernelILi128ELi8EPK19rocblas_complex_numIdEPKPS1_EviiT1_T2_llli.has_indirect_call, 0
	.section	.AMDGPU.csdata,"",@progbits
; Kernel info:
; codeLenInByte = 556
; TotalNumSgprs: 25
; NumVgprs: 16
; ScratchSize: 0
; MemoryBound: 0
; FloatMode: 240
; IeeeMode: 1
; LDSByteSize: 0 bytes/workgroup (compile time only)
; SGPRBlocks: 0
; VGPRBlocks: 1
; NumSGPRsForWavesPerEU: 25
; NumVGPRsForWavesPerEU: 16
; Occupancy: 16
; WaveLimiterHint : 0
; COMPUTE_PGM_RSRC2:SCRATCH_EN: 0
; COMPUTE_PGM_RSRC2:USER_SGPR: 2
; COMPUTE_PGM_RSRC2:TRAP_HANDLER: 0
; COMPUTE_PGM_RSRC2:TGID_X_EN: 1
; COMPUTE_PGM_RSRC2:TGID_Y_EN: 1
; COMPUTE_PGM_RSRC2:TGID_Z_EN: 1
; COMPUTE_PGM_RSRC2:TIDIG_COMP_CNT: 1
	.section	.text._ZL24rocblas_symm_hemm_kernelILb0ELb0ELi32EPK19rocblas_complex_numIdEPKS3_PKPS1_EvbiiT2_T3_lllSA_lllT4_llli,"axG",@progbits,_ZL24rocblas_symm_hemm_kernelILb0ELb0ELi32EPK19rocblas_complex_numIdEPKS3_PKPS1_EvbiiT2_T3_lllSA_lllT4_llli,comdat
	.globl	_ZL24rocblas_symm_hemm_kernelILb0ELb0ELi32EPK19rocblas_complex_numIdEPKS3_PKPS1_EvbiiT2_T3_lllSA_lllT4_llli ; -- Begin function _ZL24rocblas_symm_hemm_kernelILb0ELb0ELi32EPK19rocblas_complex_numIdEPKS3_PKPS1_EvbiiT2_T3_lllSA_lllT4_llli
	.p2align	8
	.type	_ZL24rocblas_symm_hemm_kernelILb0ELb0ELi32EPK19rocblas_complex_numIdEPKS3_PKPS1_EvbiiT2_T3_lllSA_lllT4_llli,@function
_ZL24rocblas_symm_hemm_kernelILb0ELb0ELi32EPK19rocblas_complex_numIdEPKS3_PKPS1_EvbiiT2_T3_lllSA_lllT4_llli: ; @_ZL24rocblas_symm_hemm_kernelILb0ELb0ELi32EPK19rocblas_complex_numIdEPKS3_PKPS1_EvbiiT2_T3_lllSA_lllT4_llli
; %bb.0:
	s_load_b256 s[4:11], s[0:1], 0x10
	s_wait_kmcnt 0x0
	s_load_b128 s[12:15], s[4:5], 0x0
	s_wait_kmcnt 0x0
	v_cmp_eq_f64_e64 s2, s[12:13], 0
	v_cmp_eq_f64_e64 s3, s[14:15], 0
	s_and_b32 s2, s2, s3
	s_delay_alu instid0(SALU_CYCLE_1)
	s_and_b32 vcc_lo, exec_lo, s2
	s_cbranch_vccnz .LBB51_18
; %bb.1:
	s_load_b32 s3, s[0:1], 0x78
	s_lshr_b32 s4, ttmp7, 16
	s_wait_kmcnt 0x0
	s_cmp_ge_u32 s4, s3
	s_cbranch_scc1 .LBB51_18
; %bb.2:
	s_clause 0x4
	s_load_b96 s[24:26], s[0:1], 0x0
	s_load_b128 s[16:19], s[0:1], 0x38
	s_load_b64 s[28:29], s[0:1], 0x68
	s_load_b64 s[30:31], s[0:1], 0x48
	s_load_b128 s[20:23], s[0:1], 0x58
	v_and_b32_e32 v16, 0x3ff, v0
	v_bfe_u32 v15, v0, 10, 10
	s_add_nc_u64 s[34:35], s[0:1], 0x80
	s_mov_b32 s5, 0
	s_delay_alu instid0(VALU_DEP_2) | instskip(NEXT) | instid1(VALU_DEP_2)
	v_lshl_add_u32 v8, ttmp9, 5, v16
	v_lshlrev_b32_e32 v0, 4, v15
	v_lshlrev_b32_e32 v17, 9, v16
	s_delay_alu instid0(VALU_DEP_3) | instskip(NEXT) | instid1(VALU_DEP_3)
	v_ashrrev_i32_e32 v9, 31, v8
	v_or_b32_e32 v18, 0x4000, v0
	s_delay_alu instid0(VALU_DEP_3) | instskip(NEXT) | instid1(VALU_DEP_3)
	v_add_nc_u32_e32 v19, v17, v0
	v_lshlrev_b64_e32 v[9:10], 4, v[8:9]
	s_wait_kmcnt 0x0
	s_bitcmp1_b32 s24, 0
	v_add_nc_u32_e32 v20, v18, v17
	s_cselect_b32 s0, -1, 0
	s_add_co_i32 s1, s26, -1
	s_wait_alu 0xfffe
	s_and_b32 s24, ttmp7, 0xffff
	s_ashr_i32 s2, s1, 31
	s_delay_alu instid0(SALU_CYCLE_1) | instskip(NEXT) | instid1(SALU_CYCLE_1)
	s_lshr_b32 s2, s2, 27
	s_add_co_i32 s1, s1, s2
	s_wait_alu 0xfffe
	s_ashr_i32 s27, s1, 5
	v_cmp_gt_i32_e64 s1, s25, v8
	s_cmp_le_i32 s24, s27
	s_cselect_b32 s33, -1, 0
	s_cmp_gt_i32 s25, 0
	s_cselect_b32 s40, -1, 0
	s_lshl_b64 s[8:9], s[8:9], 4
	s_lshl_b64 s[18:19], s[18:19], 4
	;; [unrolled: 1-line block ×3, first 2 shown]
	s_branch .LBB51_4
.LBB51_3:                               ;   in Loop: Header=BB51_4 Depth=1
	s_add_co_i32 s4, s4, 0x10000
	s_delay_alu instid0(SALU_CYCLE_1)
	s_cmp_lt_u32 s4, s3
	s_cbranch_scc0 .LBB51_18
.LBB51_4:                               ; =>This Loop Header: Depth=1
                                        ;     Child Loop BB51_7 Depth 2
                                        ;       Child Loop BB51_10 Depth 3
                                        ;         Child Loop BB51_16 Depth 4
	s_and_not1_b32 vcc_lo, exec_lo, s33
	s_wait_alu 0xfffe
	s_cbranch_vccnz .LBB51_3
; %bb.5:                                ;   in Loop: Header=BB51_4 Depth=1
	s_lshl_b64 s[36:37], s[4:5], 3
	s_wait_alu 0xfffe
	s_add_nc_u64 s[38:39], s[20:21], s[36:37]
	s_add_nc_u64 s[42:43], s[6:7], s[36:37]
	s_load_b64 s[38:39], s[38:39], 0x0
	s_add_nc_u64 s[36:37], s[16:17], s[36:37]
	s_load_b64 s[42:43], s[42:43], 0x0
	s_load_b64 s[44:45], s[36:37], 0x0
	s_load_b32 s41, s[34:35], 0x4
	s_wait_kmcnt 0x0
	s_add_nc_u64 s[36:37], s[38:39], s[22:23]
	s_add_nc_u64 s[38:39], s[44:45], s[18:19]
	s_wait_alu 0xfffe
	v_add_co_u32 v21, vcc_lo, s36, v9
	s_wait_alu 0xfffd
	v_add_co_ci_u32_e64 v22, null, s37, v10, vcc_lo
	s_add_nc_u64 s[36:37], s[42:43], s[8:9]
	s_mov_b32 s42, s24
	s_branch .LBB51_7
.LBB51_6:                               ;   in Loop: Header=BB51_7 Depth=2
	s_add_co_i32 s42, s42, s41
	s_wait_alu 0xfffe
	s_cmp_gt_i32 s42, s27
	s_cbranch_scc1 .LBB51_3
.LBB51_7:                               ;   Parent Loop BB51_4 Depth=1
                                        ; =>  This Loop Header: Depth=2
                                        ;       Child Loop BB51_10 Depth 3
                                        ;         Child Loop BB51_16 Depth 4
	s_and_not1_b32 vcc_lo, exec_lo, s40
	s_wait_alu 0xfffe
	s_cbranch_vccnz .LBB51_6
; %bb.8:                                ;   in Loop: Header=BB51_7 Depth=2
	v_lshl_add_u32 v4, s42, 5, v15
	s_mov_b32 s44, 0
	s_delay_alu instid0(VALU_DEP_1) | instskip(SKIP_3) | instid1(VALU_DEP_4)
	v_ashrrev_i32_e32 v5, 31, v4
	v_mul_lo_u32 v6, s31, v4
	v_mad_co_u64_u32 v[0:1], null, s30, v4, 0
	v_mul_lo_u32 v11, s29, v4
	v_mul_lo_u32 v7, s30, v5
	v_mad_co_u64_u32 v[2:3], null, s28, v4, 0
	v_mul_lo_u32 v5, s28, v5
	v_cmp_gt_i32_e32 vcc_lo, s26, v4
	s_delay_alu instid0(VALU_DEP_4) | instskip(SKIP_1) | instid1(VALU_DEP_3)
	v_add3_u32 v1, v1, v7, v6
	s_and_b32 s43, s1, vcc_lo
	v_add3_u32 v3, v3, v5, v11
	s_delay_alu instid0(VALU_DEP_2) | instskip(NEXT) | instid1(VALU_DEP_2)
	v_lshlrev_b64_e32 v[0:1], 4, v[0:1]
	v_lshlrev_b64_e32 v[2:3], 4, v[2:3]
	s_delay_alu instid0(VALU_DEP_2) | instskip(SKIP_1) | instid1(VALU_DEP_3)
	v_add_co_u32 v23, s2, s38, v0
	s_wait_alu 0xf1ff
	v_add_co_ci_u32_e64 v24, null, s39, v1, s2
	s_delay_alu instid0(VALU_DEP_3)
	v_add_co_u32 v11, s2, v21, v2
	s_wait_alu 0xf1ff
	v_add_co_ci_u32_e64 v12, null, v22, v3, s2
	s_branch .LBB51_10
.LBB51_9:                               ;   in Loop: Header=BB51_10 Depth=3
	s_wait_alu 0xfffe
	s_or_b32 exec_lo, exec_lo, s2
	s_add_co_i32 s44, s44, 32
	s_wait_storecnt 0x0
	s_wait_loadcnt_dscnt 0x0
	s_wait_alu 0xfffe
	s_cmp_ge_i32 s44, s25
	s_barrier_signal -1
	s_barrier_wait -1
	global_inv scope:SCOPE_SE
	s_cbranch_scc1 .LBB51_6
.LBB51_10:                              ;   Parent Loop BB51_4 Depth=1
                                        ;     Parent Loop BB51_7 Depth=2
                                        ; =>    This Loop Header: Depth=3
                                        ;         Child Loop BB51_16 Depth 4
	s_wait_alu 0xfffe
	v_add_nc_u32_e32 v0, s44, v15
	v_mov_b32_e32 v4, 0
	v_mov_b32_e32 v5, 0
	s_mov_b32 s45, exec_lo
	v_mov_b32_e32 v6, 0
	v_cndmask_b32_e64 v1, v0, v8, s0
	v_cndmask_b32_e64 v2, v8, v0, s0
	v_mov_b32_e32 v7, 0
	s_delay_alu instid0(VALU_DEP_2) | instskip(SKIP_1) | instid1(VALU_DEP_1)
	v_cmp_gt_i32_e64 s2, v1, v2
	s_wait_alu 0xf1ff
	v_cndmask_b32_e64 v2, v8, v0, s2
	v_cndmask_b32_e64 v3, v0, v8, s2
	v_mov_b32_e32 v0, 0
	v_mov_b32_e32 v1, 0
	s_delay_alu instid0(VALU_DEP_3) | instskip(NEXT) | instid1(VALU_DEP_1)
	v_max_i32_e32 v13, v2, v3
	v_cmpx_gt_i32_e64 s25, v13
	s_cbranch_execz .LBB51_12
; %bb.11:                               ;   in Loop: Header=BB51_10 Depth=3
	v_ashrrev_i32_e32 v6, 31, v3
	v_mul_lo_u32 v7, s11, v3
	v_mad_co_u64_u32 v[4:5], null, s10, v3, 0
	s_delay_alu instid0(VALU_DEP_3) | instskip(NEXT) | instid1(VALU_DEP_1)
	v_mul_lo_u32 v3, s10, v6
	v_add3_u32 v5, v5, v3, v7
	v_ashrrev_i32_e32 v3, 31, v2
	s_delay_alu instid0(VALU_DEP_2) | instskip(NEXT) | instid1(VALU_DEP_2)
	v_lshlrev_b64_e32 v[4:5], 4, v[4:5]
	v_lshlrev_b64_e32 v[2:3], 4, v[2:3]
	s_delay_alu instid0(VALU_DEP_2) | instskip(SKIP_1) | instid1(VALU_DEP_3)
	v_add_co_u32 v4, s2, s36, v4
	s_wait_alu 0xf1ff
	v_add_co_ci_u32_e64 v5, null, s37, v5, s2
	s_delay_alu instid0(VALU_DEP_2) | instskip(SKIP_1) | instid1(VALU_DEP_2)
	v_add_co_u32 v2, s2, v4, v2
	s_wait_alu 0xf1ff
	v_add_co_ci_u32_e64 v3, null, v5, v3, s2
	flat_load_b128 v[4:7], v[2:3]
.LBB51_12:                              ;   in Loop: Header=BB51_10 Depth=3
	s_wait_alu 0xfffe
	s_or_b32 exec_lo, exec_lo, s45
	v_dual_mov_b32 v2, 0 :: v_dual_add_nc_u32 v13, s44, v16
	v_mov_b32_e32 v3, 0
	s_wait_loadcnt_dscnt 0x0
	ds_store_b128 v19, v[4:7]
	v_cmp_gt_i32_e64 s2, s25, v13
	s_and_b32 s2, s2, vcc_lo
	s_wait_alu 0xfffe
	s_and_saveexec_b32 s45, s2
	s_cbranch_execz .LBB51_14
; %bb.13:                               ;   in Loop: Header=BB51_10 Depth=3
	v_ashrrev_i32_e32 v14, 31, v13
	s_delay_alu instid0(VALU_DEP_1) | instskip(NEXT) | instid1(VALU_DEP_1)
	v_lshlrev_b64_e32 v[0:1], 4, v[13:14]
	v_add_co_u32 v0, s2, v23, v0
	s_wait_alu 0xf1ff
	s_delay_alu instid0(VALU_DEP_2)
	v_add_co_ci_u32_e64 v1, null, v24, v1, s2
	flat_load_b128 v[0:3], v[0:1]
.LBB51_14:                              ;   in Loop: Header=BB51_10 Depth=3
	s_wait_alu 0xfffe
	s_or_b32 exec_lo, exec_lo, s45
	s_wait_loadcnt_dscnt 0x0
	ds_store_b128 v20, v[0:3]
	s_wait_dscnt 0x0
	s_barrier_signal -1
	s_barrier_wait -1
	global_inv scope:SCOPE_SE
	s_and_saveexec_b32 s2, s43
	s_cbranch_execz .LBB51_9
; %bb.15:                               ;   in Loop: Header=BB51_10 Depth=3
	v_mov_b32_e32 v0, 0
	v_dual_mov_b32 v1, 0 :: v_dual_mov_b32 v2, 0
	v_dual_mov_b32 v3, 0 :: v_dual_mov_b32 v4, v18
	s_mov_b32 s45, 0
.LBB51_16:                              ;   Parent Loop BB51_4 Depth=1
                                        ;     Parent Loop BB51_7 Depth=2
                                        ;       Parent Loop BB51_10 Depth=3
                                        ; =>      This Inner Loop Header: Depth=4
	s_wait_alu 0xfffe
	v_add_nc_u32_e32 v7, s45, v17
	s_addk_co_i32 s45, 0x80
	ds_load_b128 v[25:28], v4
	ds_load_b128 v[29:32], v7
	ds_load_b128 v[33:36], v4 offset:512
	ds_load_b128 v[37:40], v7 offset:16
	s_wait_alu 0xfffe
	s_cmp_eq_u32 s45, 0x200
	s_wait_dscnt 0x2
	v_mul_f64_e32 v[5:6], v[27:28], v[31:32]
	v_mul_f64_e32 v[13:14], v[25:26], v[31:32]
	s_wait_dscnt 0x0
	v_mul_f64_e32 v[47:48], v[35:36], v[39:40]
	v_mul_f64_e32 v[49:50], v[33:34], v[39:40]
	s_delay_alu instid0(VALU_DEP_4) | instskip(NEXT) | instid1(VALU_DEP_4)
	v_fma_f64 v[5:6], v[25:26], v[29:30], -v[5:6]
	v_fma_f64 v[13:14], v[27:28], v[29:30], v[13:14]
	ds_load_b128 v[25:28], v4 offset:1024
	ds_load_b128 v[29:32], v7 offset:32
	;; [unrolled: 1-line block ×4, first 2 shown]
	v_fma_f64 v[33:34], v[33:34], v[37:38], -v[47:48]
	v_fma_f64 v[35:36], v[35:36], v[37:38], v[49:50]
	s_wait_dscnt 0x2
	v_mul_f64_e32 v[51:52], v[27:28], v[31:32]
	v_mul_f64_e32 v[31:32], v[25:26], v[31:32]
	v_add_f64_e32 v[0:1], v[0:1], v[5:6]
	v_add_f64_e32 v[2:3], v[2:3], v[13:14]
	s_wait_dscnt 0x0
	v_mul_f64_e32 v[5:6], v[41:42], v[45:46]
	v_mul_f64_e32 v[13:14], v[39:40], v[45:46]
	v_fma_f64 v[37:38], v[25:26], v[29:30], -v[51:52]
	v_fma_f64 v[45:46], v[27:28], v[29:30], v[31:32]
	v_add_f64_e32 v[47:48], v[0:1], v[33:34]
	v_add_f64_e32 v[49:50], v[2:3], v[35:36]
	ds_load_b128 v[0:3], v4 offset:2048
	ds_load_b128 v[25:28], v7 offset:64
	;; [unrolled: 1-line block ×4, first 2 shown]
	v_fma_f64 v[5:6], v[39:40], v[43:44], -v[5:6]
	v_fma_f64 v[13:14], v[41:42], v[43:44], v[13:14]
	s_wait_dscnt 0x2
	v_mul_f64_e32 v[51:52], v[2:3], v[27:28]
	v_mul_f64_e32 v[27:28], v[0:1], v[27:28]
	s_wait_dscnt 0x0
	v_mul_f64_e32 v[43:44], v[31:32], v[35:36]
	v_add_f64_e32 v[37:38], v[47:48], v[37:38]
	v_add_f64_e32 v[39:40], v[49:50], v[45:46]
	v_mul_f64_e32 v[45:46], v[29:30], v[35:36]
	v_fma_f64 v[47:48], v[0:1], v[25:26], -v[51:52]
	v_fma_f64 v[49:50], v[2:3], v[25:26], v[27:28]
	v_fma_f64 v[29:30], v[29:30], v[33:34], -v[43:44]
	v_add_f64_e32 v[5:6], v[37:38], v[5:6]
	v_add_f64_e32 v[13:14], v[39:40], v[13:14]
	ds_load_b128 v[0:3], v4 offset:3072
	ds_load_b128 v[25:28], v7 offset:96
	;; [unrolled: 1-line block ×4, first 2 shown]
	v_fma_f64 v[31:32], v[31:32], v[33:34], v[45:46]
	v_add_nc_u32_e32 v4, 0x1000, v4
	s_wait_dscnt 0x2
	v_mul_f64_e32 v[51:52], v[2:3], v[27:28]
	v_mul_f64_e32 v[27:28], v[0:1], v[27:28]
	s_wait_dscnt 0x0
	v_mul_f64_e32 v[33:34], v[37:38], v[41:42]
	v_mul_f64_e32 v[41:42], v[35:36], v[41:42]
	v_add_f64_e32 v[5:6], v[5:6], v[47:48]
	v_add_f64_e32 v[13:14], v[13:14], v[49:50]
	v_fma_f64 v[0:1], v[0:1], v[25:26], -v[51:52]
	v_fma_f64 v[2:3], v[2:3], v[25:26], v[27:28]
	v_fma_f64 v[25:26], v[35:36], v[39:40], -v[33:34]
	v_fma_f64 v[27:28], v[37:38], v[39:40], v[41:42]
	v_add_f64_e32 v[5:6], v[5:6], v[29:30]
	v_add_f64_e32 v[13:14], v[13:14], v[31:32]
	s_delay_alu instid0(VALU_DEP_2) | instskip(NEXT) | instid1(VALU_DEP_2)
	v_add_f64_e32 v[0:1], v[5:6], v[0:1]
	v_add_f64_e32 v[2:3], v[13:14], v[2:3]
	s_delay_alu instid0(VALU_DEP_2) | instskip(NEXT) | instid1(VALU_DEP_2)
	v_add_f64_e32 v[0:1], v[0:1], v[25:26]
	v_add_f64_e32 v[2:3], v[2:3], v[27:28]
	s_cbranch_scc0 .LBB51_16
; %bb.17:                               ;   in Loop: Header=BB51_10 Depth=3
	flat_load_b128 v[4:7], v[11:12]
	v_mul_f64_e32 v[13:14], s[14:15], v[2:3]
	v_mul_f64_e32 v[25:26], s[14:15], v[0:1]
	s_delay_alu instid0(VALU_DEP_2) | instskip(NEXT) | instid1(VALU_DEP_2)
	v_fma_f64 v[0:1], s[12:13], v[0:1], -v[13:14]
	v_fma_f64 v[2:3], s[12:13], v[2:3], v[25:26]
	s_wait_loadcnt_dscnt 0x0
	s_delay_alu instid0(VALU_DEP_2) | instskip(NEXT) | instid1(VALU_DEP_2)
	v_add_f64_e32 v[0:1], v[0:1], v[4:5]
	v_add_f64_e32 v[2:3], v[2:3], v[6:7]
	flat_store_b128 v[11:12], v[0:3]
	s_branch .LBB51_9
.LBB51_18:
	s_endpgm
	.section	.rodata,"a",@progbits
	.p2align	6, 0x0
	.amdhsa_kernel _ZL24rocblas_symm_hemm_kernelILb0ELb0ELi32EPK19rocblas_complex_numIdEPKS3_PKPS1_EvbiiT2_T3_lllSA_lllT4_llli
		.amdhsa_group_segment_fixed_size 32768
		.amdhsa_private_segment_fixed_size 0
		.amdhsa_kernarg_size 384
		.amdhsa_user_sgpr_count 2
		.amdhsa_user_sgpr_dispatch_ptr 0
		.amdhsa_user_sgpr_queue_ptr 0
		.amdhsa_user_sgpr_kernarg_segment_ptr 1
		.amdhsa_user_sgpr_dispatch_id 0
		.amdhsa_user_sgpr_private_segment_size 0
		.amdhsa_wavefront_size32 1
		.amdhsa_uses_dynamic_stack 0
		.amdhsa_enable_private_segment 0
		.amdhsa_system_sgpr_workgroup_id_x 1
		.amdhsa_system_sgpr_workgroup_id_y 1
		.amdhsa_system_sgpr_workgroup_id_z 1
		.amdhsa_system_sgpr_workgroup_info 0
		.amdhsa_system_vgpr_workitem_id 1
		.amdhsa_next_free_vgpr 53
		.amdhsa_next_free_sgpr 46
		.amdhsa_reserve_vcc 1
		.amdhsa_float_round_mode_32 0
		.amdhsa_float_round_mode_16_64 0
		.amdhsa_float_denorm_mode_32 3
		.amdhsa_float_denorm_mode_16_64 3
		.amdhsa_fp16_overflow 0
		.amdhsa_workgroup_processor_mode 1
		.amdhsa_memory_ordered 1
		.amdhsa_forward_progress 1
		.amdhsa_inst_pref_size 13
		.amdhsa_round_robin_scheduling 0
		.amdhsa_exception_fp_ieee_invalid_op 0
		.amdhsa_exception_fp_denorm_src 0
		.amdhsa_exception_fp_ieee_div_zero 0
		.amdhsa_exception_fp_ieee_overflow 0
		.amdhsa_exception_fp_ieee_underflow 0
		.amdhsa_exception_fp_ieee_inexact 0
		.amdhsa_exception_int_div_zero 0
	.end_amdhsa_kernel
	.section	.text._ZL24rocblas_symm_hemm_kernelILb0ELb0ELi32EPK19rocblas_complex_numIdEPKS3_PKPS1_EvbiiT2_T3_lllSA_lllT4_llli,"axG",@progbits,_ZL24rocblas_symm_hemm_kernelILb0ELb0ELi32EPK19rocblas_complex_numIdEPKS3_PKPS1_EvbiiT2_T3_lllSA_lllT4_llli,comdat
.Lfunc_end51:
	.size	_ZL24rocblas_symm_hemm_kernelILb0ELb0ELi32EPK19rocblas_complex_numIdEPKS3_PKPS1_EvbiiT2_T3_lllSA_lllT4_llli, .Lfunc_end51-_ZL24rocblas_symm_hemm_kernelILb0ELb0ELi32EPK19rocblas_complex_numIdEPKS3_PKPS1_EvbiiT2_T3_lllSA_lllT4_llli
                                        ; -- End function
	.set _ZL24rocblas_symm_hemm_kernelILb0ELb0ELi32EPK19rocblas_complex_numIdEPKS3_PKPS1_EvbiiT2_T3_lllSA_lllT4_llli.num_vgpr, 53
	.set _ZL24rocblas_symm_hemm_kernelILb0ELb0ELi32EPK19rocblas_complex_numIdEPKS3_PKPS1_EvbiiT2_T3_lllSA_lllT4_llli.num_agpr, 0
	.set _ZL24rocblas_symm_hemm_kernelILb0ELb0ELi32EPK19rocblas_complex_numIdEPKS3_PKPS1_EvbiiT2_T3_lllSA_lllT4_llli.numbered_sgpr, 46
	.set _ZL24rocblas_symm_hemm_kernelILb0ELb0ELi32EPK19rocblas_complex_numIdEPKS3_PKPS1_EvbiiT2_T3_lllSA_lllT4_llli.num_named_barrier, 0
	.set _ZL24rocblas_symm_hemm_kernelILb0ELb0ELi32EPK19rocblas_complex_numIdEPKS3_PKPS1_EvbiiT2_T3_lllSA_lllT4_llli.private_seg_size, 0
	.set _ZL24rocblas_symm_hemm_kernelILb0ELb0ELi32EPK19rocblas_complex_numIdEPKS3_PKPS1_EvbiiT2_T3_lllSA_lllT4_llli.uses_vcc, 1
	.set _ZL24rocblas_symm_hemm_kernelILb0ELb0ELi32EPK19rocblas_complex_numIdEPKS3_PKPS1_EvbiiT2_T3_lllSA_lllT4_llli.uses_flat_scratch, 0
	.set _ZL24rocblas_symm_hemm_kernelILb0ELb0ELi32EPK19rocblas_complex_numIdEPKS3_PKPS1_EvbiiT2_T3_lllSA_lllT4_llli.has_dyn_sized_stack, 0
	.set _ZL24rocblas_symm_hemm_kernelILb0ELb0ELi32EPK19rocblas_complex_numIdEPKS3_PKPS1_EvbiiT2_T3_lllSA_lllT4_llli.has_recursion, 0
	.set _ZL24rocblas_symm_hemm_kernelILb0ELb0ELi32EPK19rocblas_complex_numIdEPKS3_PKPS1_EvbiiT2_T3_lllSA_lllT4_llli.has_indirect_call, 0
	.section	.AMDGPU.csdata,"",@progbits
; Kernel info:
; codeLenInByte = 1608
; TotalNumSgprs: 48
; NumVgprs: 53
; ScratchSize: 0
; MemoryBound: 1
; FloatMode: 240
; IeeeMode: 1
; LDSByteSize: 32768 bytes/workgroup (compile time only)
; SGPRBlocks: 0
; VGPRBlocks: 6
; NumSGPRsForWavesPerEU: 48
; NumVGPRsForWavesPerEU: 53
; Occupancy: 16
; WaveLimiterHint : 1
; COMPUTE_PGM_RSRC2:SCRATCH_EN: 0
; COMPUTE_PGM_RSRC2:USER_SGPR: 2
; COMPUTE_PGM_RSRC2:TRAP_HANDLER: 0
; COMPUTE_PGM_RSRC2:TGID_X_EN: 1
; COMPUTE_PGM_RSRC2:TGID_Y_EN: 1
; COMPUTE_PGM_RSRC2:TGID_Z_EN: 1
; COMPUTE_PGM_RSRC2:TIDIG_COMP_CNT: 1
	.section	.text._ZL24rocblas_symm_hemm_kernelILb0ELb1ELi32EPK19rocblas_complex_numIdEPKS3_PKPS1_EvbiiT2_T3_lllSA_lllT4_llli,"axG",@progbits,_ZL24rocblas_symm_hemm_kernelILb0ELb1ELi32EPK19rocblas_complex_numIdEPKS3_PKPS1_EvbiiT2_T3_lllSA_lllT4_llli,comdat
	.globl	_ZL24rocblas_symm_hemm_kernelILb0ELb1ELi32EPK19rocblas_complex_numIdEPKS3_PKPS1_EvbiiT2_T3_lllSA_lllT4_llli ; -- Begin function _ZL24rocblas_symm_hemm_kernelILb0ELb1ELi32EPK19rocblas_complex_numIdEPKS3_PKPS1_EvbiiT2_T3_lllSA_lllT4_llli
	.p2align	8
	.type	_ZL24rocblas_symm_hemm_kernelILb0ELb1ELi32EPK19rocblas_complex_numIdEPKS3_PKPS1_EvbiiT2_T3_lllSA_lllT4_llli,@function
_ZL24rocblas_symm_hemm_kernelILb0ELb1ELi32EPK19rocblas_complex_numIdEPKS3_PKPS1_EvbiiT2_T3_lllSA_lllT4_llli: ; @_ZL24rocblas_symm_hemm_kernelILb0ELb1ELi32EPK19rocblas_complex_numIdEPKS3_PKPS1_EvbiiT2_T3_lllSA_lllT4_llli
; %bb.0:
	s_load_b256 s[4:11], s[0:1], 0x10
	s_wait_kmcnt 0x0
	s_load_b128 s[12:15], s[4:5], 0x0
	s_wait_kmcnt 0x0
	v_cmp_eq_f64_e64 s2, s[12:13], 0
	v_cmp_eq_f64_e64 s3, s[14:15], 0
	s_and_b32 s2, s2, s3
	s_delay_alu instid0(SALU_CYCLE_1)
	s_and_b32 vcc_lo, exec_lo, s2
	s_cbranch_vccnz .LBB52_18
; %bb.1:
	s_load_b32 s3, s[0:1], 0x78
	s_lshr_b32 s4, ttmp7, 16
	s_wait_kmcnt 0x0
	s_cmp_ge_u32 s4, s3
	s_cbranch_scc1 .LBB52_18
; %bb.2:
	s_clause 0x4
	s_load_b96 s[24:26], s[0:1], 0x0
	s_load_b128 s[16:19], s[0:1], 0x38
	s_load_b64 s[28:29], s[0:1], 0x68
	s_load_b64 s[30:31], s[0:1], 0x48
	s_load_b128 s[20:23], s[0:1], 0x58
	v_and_b32_e32 v15, 0x3ff, v0
	v_bfe_u32 v14, v0, 10, 10
	s_add_nc_u64 s[34:35], s[0:1], 0x80
	s_mov_b32 s5, 0
	s_delay_alu instid0(VALU_DEP_2) | instskip(NEXT) | instid1(VALU_DEP_2)
	v_lshl_add_u32 v0, ttmp9, 5, v15
	v_lshlrev_b32_e32 v2, 4, v14
	v_lshlrev_b32_e32 v16, 9, v15
	s_delay_alu instid0(VALU_DEP_3) | instskip(NEXT) | instid1(VALU_DEP_3)
	v_ashrrev_i32_e32 v1, 31, v0
	v_or_b32_e32 v17, 0x4000, v2
	s_delay_alu instid0(VALU_DEP_3) | instskip(NEXT) | instid1(VALU_DEP_3)
	v_add_nc_u32_e32 v18, v16, v2
	v_lshlrev_b64_e32 v[8:9], 4, v[0:1]
	s_wait_kmcnt 0x0
	s_bitcmp1_b32 s24, 0
	v_add_nc_u32_e32 v19, v17, v16
	s_cselect_b32 s0, -1, 0
	s_add_co_i32 s1, s26, -1
	s_wait_alu 0xfffe
	s_and_b32 s27, ttmp7, 0xffff
	s_ashr_i32 s2, s1, 31
	s_delay_alu instid0(SALU_CYCLE_1) | instskip(NEXT) | instid1(SALU_CYCLE_1)
	s_lshr_b32 s2, s2, 27
	s_add_co_i32 s1, s1, s2
	s_wait_alu 0xfffe
	s_ashr_i32 s33, s1, 5
	v_cmp_gt_i32_e64 s1, s25, v0
	s_cmp_le_i32 s27, s33
	s_cselect_b32 s36, -1, 0
	s_cmp_gt_i32 s26, 0
	s_cselect_b32 s37, -1, 0
	s_lshl_b64 s[8:9], s[8:9], 4
	s_lshl_b64 s[22:23], s[22:23], 4
	;; [unrolled: 1-line block ×3, first 2 shown]
	s_branch .LBB52_4
.LBB52_3:                               ;   in Loop: Header=BB52_4 Depth=1
	s_add_co_i32 s4, s4, 0x10000
	s_delay_alu instid0(SALU_CYCLE_1)
	s_cmp_lt_u32 s4, s3
	s_cbranch_scc0 .LBB52_18
.LBB52_4:                               ; =>This Loop Header: Depth=1
                                        ;     Child Loop BB52_7 Depth 2
                                        ;       Child Loop BB52_10 Depth 3
                                        ;         Child Loop BB52_16 Depth 4
	s_and_not1_b32 vcc_lo, exec_lo, s36
	s_wait_alu 0xfffe
	s_cbranch_vccnz .LBB52_3
; %bb.5:                                ;   in Loop: Header=BB52_4 Depth=1
	s_lshl_b64 s[24:25], s[4:5], 3
	s_wait_alu 0xfffe
	s_add_nc_u64 s[38:39], s[20:21], s[24:25]
	s_add_nc_u64 s[40:41], s[16:17], s[24:25]
	s_load_b64 s[42:43], s[38:39], 0x0
	s_load_b64 s[40:41], s[40:41], 0x0
	s_add_nc_u64 s[24:25], s[6:7], s[24:25]
	s_load_b64 s[24:25], s[24:25], 0x0
	s_load_b32 s38, s[34:35], 0x4
	s_mov_b32 s39, s27
	s_wait_kmcnt 0x0
	s_add_nc_u64 s[42:43], s[42:43], s[22:23]
	s_add_nc_u64 s[40:41], s[40:41], s[18:19]
	;; [unrolled: 1-line block ×3, first 2 shown]
	s_wait_alu 0xfffe
	v_add_co_u32 v20, vcc_lo, s40, v8
	s_wait_alu 0xfffd
	v_add_co_ci_u32_e64 v21, null, s41, v9, vcc_lo
	v_add_co_u32 v22, vcc_lo, s42, v8
	s_wait_alu 0xfffd
	v_add_co_ci_u32_e64 v23, null, s43, v9, vcc_lo
	s_branch .LBB52_7
.LBB52_6:                               ;   in Loop: Header=BB52_7 Depth=2
	s_add_co_i32 s39, s39, s38
	s_wait_alu 0xfffe
	s_cmp_gt_i32 s39, s33
	s_cbranch_scc1 .LBB52_3
.LBB52_7:                               ;   Parent Loop BB52_4 Depth=1
                                        ; =>  This Loop Header: Depth=2
                                        ;       Child Loop BB52_10 Depth 3
                                        ;         Child Loop BB52_16 Depth 4
	s_and_not1_b32 vcc_lo, exec_lo, s37
	s_wait_alu 0xfffe
	s_cbranch_vccnz .LBB52_6
; %bb.8:                                ;   in Loop: Header=BB52_7 Depth=2
	v_lshl_add_u32 v24, s39, 5, v14
	s_mov_b32 s40, 0
	s_delay_alu instid0(VALU_DEP_1) | instskip(SKIP_3) | instid1(VALU_DEP_4)
	v_ashrrev_i32_e32 v2, 31, v24
	v_mul_lo_u32 v3, s29, v24
	v_mad_co_u64_u32 v[0:1], null, s28, v24, 0
	v_cmp_gt_i32_e32 vcc_lo, s26, v24
	v_mul_lo_u32 v2, s28, v2
	s_delay_alu instid0(VALU_DEP_1) | instskip(NEXT) | instid1(VALU_DEP_1)
	v_add3_u32 v1, v1, v2, v3
	v_lshlrev_b64_e32 v[0:1], 4, v[0:1]
	s_delay_alu instid0(VALU_DEP_1) | instskip(SKIP_1) | instid1(VALU_DEP_2)
	v_add_co_u32 v10, s2, v22, v0
	s_wait_alu 0xf1ff
	v_add_co_ci_u32_e64 v11, null, v23, v1, s2
	s_and_b32 s2, s1, vcc_lo
	s_branch .LBB52_10
.LBB52_9:                               ;   in Loop: Header=BB52_10 Depth=3
	s_wait_alu 0xfffe
	s_or_b32 exec_lo, exec_lo, s41
	s_add_co_i32 s40, s40, 32
	s_wait_storecnt 0x0
	s_wait_loadcnt_dscnt 0x0
	s_wait_alu 0xfffe
	s_cmp_ge_i32 s40, s26
	s_barrier_signal -1
	s_barrier_wait -1
	global_inv scope:SCOPE_SE
	s_cbranch_scc1 .LBB52_6
.LBB52_10:                              ;   Parent Loop BB52_4 Depth=1
                                        ;     Parent Loop BB52_7 Depth=2
                                        ; =>    This Loop Header: Depth=3
                                        ;         Child Loop BB52_16 Depth 4
	s_wait_alu 0xfffe
	v_add_nc_u32_e32 v2, s40, v14
	v_mov_b32_e32 v0, 0
	v_dual_mov_b32 v1, 0 :: v_dual_mov_b32 v4, 0
	v_mov_b32_e32 v6, 0
	s_delay_alu instid0(VALU_DEP_4)
	v_cmp_gt_i32_e32 vcc_lo, s26, v2
	v_mov_b32_e32 v5, 0
	v_mov_b32_e32 v7, 0
	s_and_b32 s42, s1, vcc_lo
	s_wait_alu 0xfffe
	s_and_saveexec_b32 s41, s42
	s_cbranch_execz .LBB52_12
; %bb.11:                               ;   in Loop: Header=BB52_10 Depth=3
	v_ashrrev_i32_e32 v4, 31, v2
	v_mul_lo_u32 v5, s31, v2
	v_mad_co_u64_u32 v[2:3], null, s30, v2, 0
	s_delay_alu instid0(VALU_DEP_3) | instskip(NEXT) | instid1(VALU_DEP_1)
	v_mul_lo_u32 v4, s30, v4
	v_add3_u32 v3, v3, v4, v5
	s_delay_alu instid0(VALU_DEP_1) | instskip(NEXT) | instid1(VALU_DEP_1)
	v_lshlrev_b64_e32 v[2:3], 4, v[2:3]
	v_add_co_u32 v2, vcc_lo, v20, v2
	s_wait_alu 0xfffd
	s_delay_alu instid0(VALU_DEP_2)
	v_add_co_ci_u32_e64 v3, null, v21, v3, vcc_lo
	flat_load_b128 v[4:7], v[2:3]
.LBB52_12:                              ;   in Loop: Header=BB52_10 Depth=3
	s_wait_alu 0xfffe
	s_or_b32 exec_lo, exec_lo, s41
	v_add_nc_u32_e32 v2, s40, v15
	s_mov_b32 s41, exec_lo
	s_wait_loadcnt_dscnt 0x0
	ds_store_b128 v18, v[4:7]
	v_cndmask_b32_e64 v3, v24, v2, s0
	v_cndmask_b32_e64 v12, v2, v24, s0
	s_delay_alu instid0(VALU_DEP_1) | instskip(SKIP_4) | instid1(VALU_DEP_3)
	v_cmp_gt_i32_e32 vcc_lo, v3, v12
	s_wait_alu 0xfffd
	v_dual_cndmask_b32 v12, v2, v24 :: v_dual_cndmask_b32 v13, v24, v2
	v_mov_b32_e32 v2, 0
	v_mov_b32_e32 v3, 0
	v_max_i32_e32 v25, v12, v13
	s_delay_alu instid0(VALU_DEP_1)
	v_cmpx_gt_i32_e64 s26, v25
	s_cbranch_execz .LBB52_14
; %bb.13:                               ;   in Loop: Header=BB52_10 Depth=3
	v_ashrrev_i32_e32 v2, 31, v13
	v_mul_lo_u32 v3, s11, v13
	v_mad_co_u64_u32 v[0:1], null, s10, v13, 0
	v_ashrrev_i32_e32 v13, 31, v12
	s_delay_alu instid0(VALU_DEP_4) | instskip(NEXT) | instid1(VALU_DEP_1)
	v_mul_lo_u32 v2, s10, v2
	v_add3_u32 v1, v1, v2, v3
	s_delay_alu instid0(VALU_DEP_3) | instskip(NEXT) | instid1(VALU_DEP_2)
	v_lshlrev_b64_e32 v[2:3], 4, v[12:13]
	v_lshlrev_b64_e32 v[0:1], 4, v[0:1]
	s_delay_alu instid0(VALU_DEP_1) | instskip(SKIP_1) | instid1(VALU_DEP_2)
	v_add_co_u32 v0, vcc_lo, s24, v0
	s_wait_alu 0xfffd
	v_add_co_ci_u32_e64 v1, null, s25, v1, vcc_lo
	s_delay_alu instid0(VALU_DEP_2) | instskip(SKIP_1) | instid1(VALU_DEP_2)
	v_add_co_u32 v0, vcc_lo, v0, v2
	s_wait_alu 0xfffd
	v_add_co_ci_u32_e64 v1, null, v1, v3, vcc_lo
	flat_load_b128 v[0:3], v[0:1]
.LBB52_14:                              ;   in Loop: Header=BB52_10 Depth=3
	s_wait_alu 0xfffe
	s_or_b32 exec_lo, exec_lo, s41
	s_wait_loadcnt_dscnt 0x0
	ds_store_b128 v19, v[0:3]
	s_wait_dscnt 0x0
	s_barrier_signal -1
	s_barrier_wait -1
	global_inv scope:SCOPE_SE
	s_and_saveexec_b32 s41, s2
	s_cbranch_execz .LBB52_9
; %bb.15:                               ;   in Loop: Header=BB52_10 Depth=3
	v_mov_b32_e32 v0, 0
	v_dual_mov_b32 v1, 0 :: v_dual_mov_b32 v2, 0
	v_dual_mov_b32 v3, 0 :: v_dual_mov_b32 v4, v17
	s_mov_b32 s42, 0
.LBB52_16:                              ;   Parent Loop BB52_4 Depth=1
                                        ;     Parent Loop BB52_7 Depth=2
                                        ;       Parent Loop BB52_10 Depth=3
                                        ; =>      This Inner Loop Header: Depth=4
	s_wait_alu 0xfffe
	v_add_nc_u32_e32 v7, s42, v16
	s_addk_co_i32 s42, 0x80
	ds_load_b128 v[25:28], v4
	ds_load_b128 v[29:32], v7
	ds_load_b128 v[33:36], v4 offset:512
	ds_load_b128 v[37:40], v7 offset:16
	s_wait_alu 0xfffe
	s_cmp_eq_u32 s42, 0x200
	s_wait_dscnt 0x2
	v_mul_f64_e32 v[5:6], v[27:28], v[31:32]
	v_mul_f64_e32 v[12:13], v[25:26], v[31:32]
	s_wait_dscnt 0x0
	v_mul_f64_e32 v[47:48], v[35:36], v[39:40]
	v_mul_f64_e32 v[49:50], v[33:34], v[39:40]
	s_delay_alu instid0(VALU_DEP_4) | instskip(NEXT) | instid1(VALU_DEP_4)
	v_fma_f64 v[5:6], v[25:26], v[29:30], -v[5:6]
	v_fma_f64 v[12:13], v[27:28], v[29:30], v[12:13]
	ds_load_b128 v[25:28], v4 offset:1024
	ds_load_b128 v[29:32], v7 offset:32
	;; [unrolled: 1-line block ×4, first 2 shown]
	v_fma_f64 v[33:34], v[33:34], v[37:38], -v[47:48]
	v_fma_f64 v[35:36], v[35:36], v[37:38], v[49:50]
	s_wait_dscnt 0x2
	v_mul_f64_e32 v[51:52], v[27:28], v[31:32]
	v_mul_f64_e32 v[31:32], v[25:26], v[31:32]
	v_add_f64_e32 v[0:1], v[0:1], v[5:6]
	v_add_f64_e32 v[2:3], v[2:3], v[12:13]
	s_wait_dscnt 0x0
	v_mul_f64_e32 v[5:6], v[41:42], v[45:46]
	v_mul_f64_e32 v[12:13], v[39:40], v[45:46]
	v_fma_f64 v[37:38], v[25:26], v[29:30], -v[51:52]
	v_fma_f64 v[45:46], v[27:28], v[29:30], v[31:32]
	v_add_f64_e32 v[47:48], v[0:1], v[33:34]
	v_add_f64_e32 v[49:50], v[2:3], v[35:36]
	ds_load_b128 v[0:3], v4 offset:2048
	ds_load_b128 v[25:28], v7 offset:64
	;; [unrolled: 1-line block ×4, first 2 shown]
	v_fma_f64 v[5:6], v[39:40], v[43:44], -v[5:6]
	v_fma_f64 v[12:13], v[41:42], v[43:44], v[12:13]
	s_wait_dscnt 0x2
	v_mul_f64_e32 v[51:52], v[2:3], v[27:28]
	v_mul_f64_e32 v[27:28], v[0:1], v[27:28]
	s_wait_dscnt 0x0
	v_mul_f64_e32 v[43:44], v[31:32], v[35:36]
	v_add_f64_e32 v[37:38], v[47:48], v[37:38]
	v_add_f64_e32 v[39:40], v[49:50], v[45:46]
	v_mul_f64_e32 v[45:46], v[29:30], v[35:36]
	v_fma_f64 v[47:48], v[0:1], v[25:26], -v[51:52]
	v_fma_f64 v[49:50], v[2:3], v[25:26], v[27:28]
	v_fma_f64 v[29:30], v[29:30], v[33:34], -v[43:44]
	v_add_f64_e32 v[5:6], v[37:38], v[5:6]
	v_add_f64_e32 v[12:13], v[39:40], v[12:13]
	ds_load_b128 v[0:3], v4 offset:3072
	ds_load_b128 v[25:28], v7 offset:96
	;; [unrolled: 1-line block ×4, first 2 shown]
	v_fma_f64 v[31:32], v[31:32], v[33:34], v[45:46]
	v_add_nc_u32_e32 v4, 0x1000, v4
	s_wait_dscnt 0x2
	v_mul_f64_e32 v[51:52], v[2:3], v[27:28]
	v_mul_f64_e32 v[27:28], v[0:1], v[27:28]
	s_wait_dscnt 0x0
	v_mul_f64_e32 v[33:34], v[37:38], v[41:42]
	v_mul_f64_e32 v[41:42], v[35:36], v[41:42]
	v_add_f64_e32 v[5:6], v[5:6], v[47:48]
	v_add_f64_e32 v[12:13], v[12:13], v[49:50]
	v_fma_f64 v[0:1], v[0:1], v[25:26], -v[51:52]
	v_fma_f64 v[2:3], v[2:3], v[25:26], v[27:28]
	v_fma_f64 v[25:26], v[35:36], v[39:40], -v[33:34]
	v_fma_f64 v[27:28], v[37:38], v[39:40], v[41:42]
	v_add_f64_e32 v[5:6], v[5:6], v[29:30]
	v_add_f64_e32 v[12:13], v[12:13], v[31:32]
	s_delay_alu instid0(VALU_DEP_2) | instskip(NEXT) | instid1(VALU_DEP_2)
	v_add_f64_e32 v[0:1], v[5:6], v[0:1]
	v_add_f64_e32 v[2:3], v[12:13], v[2:3]
	s_delay_alu instid0(VALU_DEP_2) | instskip(NEXT) | instid1(VALU_DEP_2)
	v_add_f64_e32 v[0:1], v[0:1], v[25:26]
	v_add_f64_e32 v[2:3], v[2:3], v[27:28]
	s_cbranch_scc0 .LBB52_16
; %bb.17:                               ;   in Loop: Header=BB52_10 Depth=3
	flat_load_b128 v[4:7], v[10:11]
	v_mul_f64_e32 v[12:13], s[14:15], v[2:3]
	v_mul_f64_e32 v[25:26], s[14:15], v[0:1]
	s_delay_alu instid0(VALU_DEP_2) | instskip(NEXT) | instid1(VALU_DEP_2)
	v_fma_f64 v[0:1], s[12:13], v[0:1], -v[12:13]
	v_fma_f64 v[2:3], s[12:13], v[2:3], v[25:26]
	s_wait_loadcnt_dscnt 0x0
	s_delay_alu instid0(VALU_DEP_2) | instskip(NEXT) | instid1(VALU_DEP_2)
	v_add_f64_e32 v[0:1], v[0:1], v[4:5]
	v_add_f64_e32 v[2:3], v[2:3], v[6:7]
	flat_store_b128 v[10:11], v[0:3]
	s_branch .LBB52_9
.LBB52_18:
	s_endpgm
	.section	.rodata,"a",@progbits
	.p2align	6, 0x0
	.amdhsa_kernel _ZL24rocblas_symm_hemm_kernelILb0ELb1ELi32EPK19rocblas_complex_numIdEPKS3_PKPS1_EvbiiT2_T3_lllSA_lllT4_llli
		.amdhsa_group_segment_fixed_size 32768
		.amdhsa_private_segment_fixed_size 0
		.amdhsa_kernarg_size 384
		.amdhsa_user_sgpr_count 2
		.amdhsa_user_sgpr_dispatch_ptr 0
		.amdhsa_user_sgpr_queue_ptr 0
		.amdhsa_user_sgpr_kernarg_segment_ptr 1
		.amdhsa_user_sgpr_dispatch_id 0
		.amdhsa_user_sgpr_private_segment_size 0
		.amdhsa_wavefront_size32 1
		.amdhsa_uses_dynamic_stack 0
		.amdhsa_enable_private_segment 0
		.amdhsa_system_sgpr_workgroup_id_x 1
		.amdhsa_system_sgpr_workgroup_id_y 1
		.amdhsa_system_sgpr_workgroup_id_z 1
		.amdhsa_system_sgpr_workgroup_info 0
		.amdhsa_system_vgpr_workitem_id 1
		.amdhsa_next_free_vgpr 53
		.amdhsa_next_free_sgpr 44
		.amdhsa_reserve_vcc 1
		.amdhsa_float_round_mode_32 0
		.amdhsa_float_round_mode_16_64 0
		.amdhsa_float_denorm_mode_32 3
		.amdhsa_float_denorm_mode_16_64 3
		.amdhsa_fp16_overflow 0
		.amdhsa_workgroup_processor_mode 1
		.amdhsa_memory_ordered 1
		.amdhsa_forward_progress 1
		.amdhsa_inst_pref_size 13
		.amdhsa_round_robin_scheduling 0
		.amdhsa_exception_fp_ieee_invalid_op 0
		.amdhsa_exception_fp_denorm_src 0
		.amdhsa_exception_fp_ieee_div_zero 0
		.amdhsa_exception_fp_ieee_overflow 0
		.amdhsa_exception_fp_ieee_underflow 0
		.amdhsa_exception_fp_ieee_inexact 0
		.amdhsa_exception_int_div_zero 0
	.end_amdhsa_kernel
	.section	.text._ZL24rocblas_symm_hemm_kernelILb0ELb1ELi32EPK19rocblas_complex_numIdEPKS3_PKPS1_EvbiiT2_T3_lllSA_lllT4_llli,"axG",@progbits,_ZL24rocblas_symm_hemm_kernelILb0ELb1ELi32EPK19rocblas_complex_numIdEPKS3_PKPS1_EvbiiT2_T3_lllSA_lllT4_llli,comdat
.Lfunc_end52:
	.size	_ZL24rocblas_symm_hemm_kernelILb0ELb1ELi32EPK19rocblas_complex_numIdEPKS3_PKPS1_EvbiiT2_T3_lllSA_lllT4_llli, .Lfunc_end52-_ZL24rocblas_symm_hemm_kernelILb0ELb1ELi32EPK19rocblas_complex_numIdEPKS3_PKPS1_EvbiiT2_T3_lllSA_lllT4_llli
                                        ; -- End function
	.set _ZL24rocblas_symm_hemm_kernelILb0ELb1ELi32EPK19rocblas_complex_numIdEPKS3_PKPS1_EvbiiT2_T3_lllSA_lllT4_llli.num_vgpr, 53
	.set _ZL24rocblas_symm_hemm_kernelILb0ELb1ELi32EPK19rocblas_complex_numIdEPKS3_PKPS1_EvbiiT2_T3_lllSA_lllT4_llli.num_agpr, 0
	.set _ZL24rocblas_symm_hemm_kernelILb0ELb1ELi32EPK19rocblas_complex_numIdEPKS3_PKPS1_EvbiiT2_T3_lllSA_lllT4_llli.numbered_sgpr, 44
	.set _ZL24rocblas_symm_hemm_kernelILb0ELb1ELi32EPK19rocblas_complex_numIdEPKS3_PKPS1_EvbiiT2_T3_lllSA_lllT4_llli.num_named_barrier, 0
	.set _ZL24rocblas_symm_hemm_kernelILb0ELb1ELi32EPK19rocblas_complex_numIdEPKS3_PKPS1_EvbiiT2_T3_lllSA_lllT4_llli.private_seg_size, 0
	.set _ZL24rocblas_symm_hemm_kernelILb0ELb1ELi32EPK19rocblas_complex_numIdEPKS3_PKPS1_EvbiiT2_T3_lllSA_lllT4_llli.uses_vcc, 1
	.set _ZL24rocblas_symm_hemm_kernelILb0ELb1ELi32EPK19rocblas_complex_numIdEPKS3_PKPS1_EvbiiT2_T3_lllSA_lllT4_llli.uses_flat_scratch, 0
	.set _ZL24rocblas_symm_hemm_kernelILb0ELb1ELi32EPK19rocblas_complex_numIdEPKS3_PKPS1_EvbiiT2_T3_lllSA_lllT4_llli.has_dyn_sized_stack, 0
	.set _ZL24rocblas_symm_hemm_kernelILb0ELb1ELi32EPK19rocblas_complex_numIdEPKS3_PKPS1_EvbiiT2_T3_lllSA_lllT4_llli.has_recursion, 0
	.set _ZL24rocblas_symm_hemm_kernelILb0ELb1ELi32EPK19rocblas_complex_numIdEPKS3_PKPS1_EvbiiT2_T3_lllSA_lllT4_llli.has_indirect_call, 0
	.section	.AMDGPU.csdata,"",@progbits
; Kernel info:
; codeLenInByte = 1588
; TotalNumSgprs: 46
; NumVgprs: 53
; ScratchSize: 0
; MemoryBound: 1
; FloatMode: 240
; IeeeMode: 1
; LDSByteSize: 32768 bytes/workgroup (compile time only)
; SGPRBlocks: 0
; VGPRBlocks: 6
; NumSGPRsForWavesPerEU: 46
; NumVGPRsForWavesPerEU: 53
; Occupancy: 16
; WaveLimiterHint : 1
; COMPUTE_PGM_RSRC2:SCRATCH_EN: 0
; COMPUTE_PGM_RSRC2:USER_SGPR: 2
; COMPUTE_PGM_RSRC2:TRAP_HANDLER: 0
; COMPUTE_PGM_RSRC2:TGID_X_EN: 1
; COMPUTE_PGM_RSRC2:TGID_Y_EN: 1
; COMPUTE_PGM_RSRC2:TGID_Z_EN: 1
; COMPUTE_PGM_RSRC2:TIDIG_COMP_CNT: 1
	.section	.text._ZL25rocblas_symm_scale_kernelILi128ELi8E19rocblas_complex_numIdEPKPS1_EviiT1_T2_llli,"axG",@progbits,_ZL25rocblas_symm_scale_kernelILi128ELi8E19rocblas_complex_numIdEPKPS1_EviiT1_T2_llli,comdat
	.globl	_ZL25rocblas_symm_scale_kernelILi128ELi8E19rocblas_complex_numIdEPKPS1_EviiT1_T2_llli ; -- Begin function _ZL25rocblas_symm_scale_kernelILi128ELi8E19rocblas_complex_numIdEPKPS1_EviiT1_T2_llli
	.p2align	8
	.type	_ZL25rocblas_symm_scale_kernelILi128ELi8E19rocblas_complex_numIdEPKPS1_EviiT1_T2_llli,@function
_ZL25rocblas_symm_scale_kernelILi128ELi8E19rocblas_complex_numIdEPKPS1_EviiT1_T2_llli: ; @_ZL25rocblas_symm_scale_kernelILi128ELi8E19rocblas_complex_numIdEPKPS1_EviiT1_T2_llli
; %bb.0:
	s_load_b256 s[4:11], s[0:1], 0x8
	s_wait_kmcnt 0x0
	v_cmp_eq_f64_e64 s2, s[4:5], 1.0
	v_cmp_eq_f64_e64 s3, s[6:7], 0
	s_and_b32 s2, s2, s3
	s_delay_alu instid0(SALU_CYCLE_1)
	s_and_b32 vcc_lo, exec_lo, s2
	s_cbranch_vccnz .LBB53_9
; %bb.1:
	s_load_b32 s20, s[0:1], 0x38
	s_lshr_b32 s12, ttmp7, 16
	s_wait_kmcnt 0x0
	s_cmp_ge_u32 s12, s20
	s_cbranch_scc1 .LBB53_9
; %bb.2:
	s_load_b64 s[14:15], s[0:1], 0x28
	v_bfe_u32 v1, v0, 10, 10
	s_and_b32 s2, ttmp7, 0xffff
	v_cmp_neq_f64_e64 s13, s[4:5], 0
	v_cmp_neq_f64_e64 s18, s[6:7], 0
	v_dual_mov_b32 v5, 0 :: v_dual_and_b32 v0, 0x3ff, v0
	v_lshl_add_u32 v4, s2, 3, v1
	s_load_b64 s[2:3], s[0:1], 0x0
	s_lshl_b64 s[16:17], s[10:11], 4
	s_delay_alu instid0(VALU_DEP_2) | instskip(SKIP_3) | instid1(VALU_DEP_3)
	v_lshl_add_u32 v6, ttmp9, 7, v0
	v_mov_b32_e32 v7, v5
	s_wait_kmcnt 0x0
	v_mad_co_u64_u32 v[1:2], null, s14, v4, 0
	v_cmp_gt_u32_e32 vcc_lo, s2, v6
	s_delay_alu instid0(VALU_DEP_2)
	v_mad_co_u64_u32 v[2:3], null, s15, v4, v[2:3]
	s_ashr_i32 s11, s3, 31
	s_mov_b32 s10, s3
	s_lshl_b64 s[14:15], s[14:15], 4
	v_cmp_gt_i64_e64 s3, s[10:11], v[4:5]
	v_lshlrev_b64_e32 v[0:1], 4, v[1:2]
	v_lshlrev_b64_e32 v[2:3], 4, v[6:7]
	s_and_b32 s21, vcc_lo, s3
	s_or_b32 s22, s13, s18
	s_delay_alu instid0(VALU_DEP_2)
	v_add_co_u32 v0, s2, v0, s16
	s_wait_alu 0xf1ff
	v_add_co_ci_u32_e64 v1, null, s17, v1, s2
	s_mov_b32 s17, 0
	v_add_co_u32 v0, s2, v0, v2
	s_wait_alu 0xf1ff
	v_add_co_ci_u32_e64 v10, null, v1, v3, s2
	s_add_nc_u64 s[2:3], s[0:1], 64
	v_or_b32_e32 v11, 8, v0
	s_branch .LBB53_4
.LBB53_3:                               ;   in Loop: Header=BB53_4 Depth=1
	s_wait_alu 0xfffe
	s_or_b32 exec_lo, exec_lo, s1
	s_add_co_i32 s12, s12, 0x10000
	s_delay_alu instid0(SALU_CYCLE_1)
	s_cmp_lt_u32 s12, s20
	s_cbranch_scc0 .LBB53_9
.LBB53_4:                               ; =>This Loop Header: Depth=1
                                        ;     Child Loop BB53_7 Depth 2
	s_and_saveexec_b32 s1, s21
	s_cbranch_execz .LBB53_3
; %bb.5:                                ;   in Loop: Header=BB53_4 Depth=1
	s_wait_alu 0xfffe
	s_mov_b32 s13, s17
	s_load_b32 s0, s[2:3], 0x4
	s_lshl_b64 s[18:19], s[12:13], 3
	v_dual_mov_b32 v9, v5 :: v_dual_mov_b32 v8, v4
	s_wait_alu 0xfffe
	s_add_nc_u64 s[18:19], s[8:9], s[18:19]
	s_mov_b32 s13, 0
	s_load_b64 s[18:19], s[18:19], 0x0
	s_wait_kmcnt 0x0
	s_lshl_b32 s16, s0, 3
	v_add_co_u32 v6, vcc_lo, s18, v11
	s_wait_alu 0xfffd
	v_add_co_ci_u32_e64 v7, null, s19, v10, vcc_lo
	s_wait_alu 0xfffe
	s_mul_u64 s[18:19], s[14:15], s[16:17]
	s_branch .LBB53_7
.LBB53_6:                               ;   in Loop: Header=BB53_7 Depth=2
	v_add_co_u32 v8, vcc_lo, v8, s16
	s_wait_alu 0xfffd
	v_add_co_ci_u32_e64 v9, null, 0, v9, vcc_lo
	flat_store_b128 v[6:7], v[0:3] offset:-8
	v_add_co_u32 v6, s0, v6, s18
	v_cmp_le_i64_e32 vcc_lo, s[10:11], v[8:9]
	s_wait_alu 0xf1ff
	v_add_co_ci_u32_e64 v7, null, s19, v7, s0
	s_or_b32 s13, vcc_lo, s13
	s_delay_alu instid0(SALU_CYCLE_1)
	s_and_not1_b32 exec_lo, exec_lo, s13
	s_cbranch_execz .LBB53_3
.LBB53_7:                               ;   Parent Loop BB53_4 Depth=1
                                        ; =>  This Inner Loop Header: Depth=2
	v_mov_b32_e32 v2, 0
	v_dual_mov_b32 v3, 0 :: v_dual_mov_b32 v0, 0
	v_mov_b32_e32 v1, 0
	s_and_not1_b32 vcc_lo, exec_lo, s22
	s_wait_alu 0xfffe
	s_cbranch_vccnz .LBB53_6
; %bb.8:                                ;   in Loop: Header=BB53_7 Depth=2
	flat_load_b128 v[12:15], v[6:7] offset:-8
	s_wait_loadcnt_dscnt 0x0
	v_mul_f64_e32 v[0:1], s[6:7], v[14:15]
	v_mul_f64_e32 v[2:3], s[4:5], v[14:15]
	s_delay_alu instid0(VALU_DEP_2) | instskip(NEXT) | instid1(VALU_DEP_2)
	v_fma_f64 v[0:1], s[4:5], v[12:13], -v[0:1]
	v_fma_f64 v[2:3], s[6:7], v[12:13], v[2:3]
	s_branch .LBB53_6
.LBB53_9:
	s_endpgm
	.section	.rodata,"a",@progbits
	.p2align	6, 0x0
	.amdhsa_kernel _ZL25rocblas_symm_scale_kernelILi128ELi8E19rocblas_complex_numIdEPKPS1_EviiT1_T2_llli
		.amdhsa_group_segment_fixed_size 0
		.amdhsa_private_segment_fixed_size 0
		.amdhsa_kernarg_size 320
		.amdhsa_user_sgpr_count 2
		.amdhsa_user_sgpr_dispatch_ptr 0
		.amdhsa_user_sgpr_queue_ptr 0
		.amdhsa_user_sgpr_kernarg_segment_ptr 1
		.amdhsa_user_sgpr_dispatch_id 0
		.amdhsa_user_sgpr_private_segment_size 0
		.amdhsa_wavefront_size32 1
		.amdhsa_uses_dynamic_stack 0
		.amdhsa_enable_private_segment 0
		.amdhsa_system_sgpr_workgroup_id_x 1
		.amdhsa_system_sgpr_workgroup_id_y 1
		.amdhsa_system_sgpr_workgroup_id_z 1
		.amdhsa_system_sgpr_workgroup_info 0
		.amdhsa_system_vgpr_workitem_id 1
		.amdhsa_next_free_vgpr 16
		.amdhsa_next_free_sgpr 23
		.amdhsa_reserve_vcc 1
		.amdhsa_float_round_mode_32 0
		.amdhsa_float_round_mode_16_64 0
		.amdhsa_float_denorm_mode_32 3
		.amdhsa_float_denorm_mode_16_64 3
		.amdhsa_fp16_overflow 0
		.amdhsa_workgroup_processor_mode 1
		.amdhsa_memory_ordered 1
		.amdhsa_forward_progress 1
		.amdhsa_inst_pref_size 5
		.amdhsa_round_robin_scheduling 0
		.amdhsa_exception_fp_ieee_invalid_op 0
		.amdhsa_exception_fp_denorm_src 0
		.amdhsa_exception_fp_ieee_div_zero 0
		.amdhsa_exception_fp_ieee_overflow 0
		.amdhsa_exception_fp_ieee_underflow 0
		.amdhsa_exception_fp_ieee_inexact 0
		.amdhsa_exception_int_div_zero 0
	.end_amdhsa_kernel
	.section	.text._ZL25rocblas_symm_scale_kernelILi128ELi8E19rocblas_complex_numIdEPKPS1_EviiT1_T2_llli,"axG",@progbits,_ZL25rocblas_symm_scale_kernelILi128ELi8E19rocblas_complex_numIdEPKPS1_EviiT1_T2_llli,comdat
.Lfunc_end53:
	.size	_ZL25rocblas_symm_scale_kernelILi128ELi8E19rocblas_complex_numIdEPKPS1_EviiT1_T2_llli, .Lfunc_end53-_ZL25rocblas_symm_scale_kernelILi128ELi8E19rocblas_complex_numIdEPKPS1_EviiT1_T2_llli
                                        ; -- End function
	.set _ZL25rocblas_symm_scale_kernelILi128ELi8E19rocblas_complex_numIdEPKPS1_EviiT1_T2_llli.num_vgpr, 16
	.set _ZL25rocblas_symm_scale_kernelILi128ELi8E19rocblas_complex_numIdEPKPS1_EviiT1_T2_llli.num_agpr, 0
	.set _ZL25rocblas_symm_scale_kernelILi128ELi8E19rocblas_complex_numIdEPKPS1_EviiT1_T2_llli.numbered_sgpr, 23
	.set _ZL25rocblas_symm_scale_kernelILi128ELi8E19rocblas_complex_numIdEPKPS1_EviiT1_T2_llli.num_named_barrier, 0
	.set _ZL25rocblas_symm_scale_kernelILi128ELi8E19rocblas_complex_numIdEPKPS1_EviiT1_T2_llli.private_seg_size, 0
	.set _ZL25rocblas_symm_scale_kernelILi128ELi8E19rocblas_complex_numIdEPKPS1_EviiT1_T2_llli.uses_vcc, 1
	.set _ZL25rocblas_symm_scale_kernelILi128ELi8E19rocblas_complex_numIdEPKPS1_EviiT1_T2_llli.uses_flat_scratch, 0
	.set _ZL25rocblas_symm_scale_kernelILi128ELi8E19rocblas_complex_numIdEPKPS1_EviiT1_T2_llli.has_dyn_sized_stack, 0
	.set _ZL25rocblas_symm_scale_kernelILi128ELi8E19rocblas_complex_numIdEPKPS1_EviiT1_T2_llli.has_recursion, 0
	.set _ZL25rocblas_symm_scale_kernelILi128ELi8E19rocblas_complex_numIdEPKPS1_EviiT1_T2_llli.has_indirect_call, 0
	.section	.AMDGPU.csdata,"",@progbits
; Kernel info:
; codeLenInByte = 556
; TotalNumSgprs: 25
; NumVgprs: 16
; ScratchSize: 0
; MemoryBound: 0
; FloatMode: 240
; IeeeMode: 1
; LDSByteSize: 0 bytes/workgroup (compile time only)
; SGPRBlocks: 0
; VGPRBlocks: 1
; NumSGPRsForWavesPerEU: 25
; NumVGPRsForWavesPerEU: 16
; Occupancy: 16
; WaveLimiterHint : 0
; COMPUTE_PGM_RSRC2:SCRATCH_EN: 0
; COMPUTE_PGM_RSRC2:USER_SGPR: 2
; COMPUTE_PGM_RSRC2:TRAP_HANDLER: 0
; COMPUTE_PGM_RSRC2:TGID_X_EN: 1
; COMPUTE_PGM_RSRC2:TGID_Y_EN: 1
; COMPUTE_PGM_RSRC2:TGID_Z_EN: 1
; COMPUTE_PGM_RSRC2:TIDIG_COMP_CNT: 1
	.section	.text._ZL24rocblas_symm_hemm_kernelILb0ELb0ELi32E19rocblas_complex_numIdEPKPKS1_PKPS1_EvbiiT2_T3_lllSA_lllT4_llli,"axG",@progbits,_ZL24rocblas_symm_hemm_kernelILb0ELb0ELi32E19rocblas_complex_numIdEPKPKS1_PKPS1_EvbiiT2_T3_lllSA_lllT4_llli,comdat
	.globl	_ZL24rocblas_symm_hemm_kernelILb0ELb0ELi32E19rocblas_complex_numIdEPKPKS1_PKPS1_EvbiiT2_T3_lllSA_lllT4_llli ; -- Begin function _ZL24rocblas_symm_hemm_kernelILb0ELb0ELi32E19rocblas_complex_numIdEPKPKS1_PKPS1_EvbiiT2_T3_lllSA_lllT4_llli
	.p2align	8
	.type	_ZL24rocblas_symm_hemm_kernelILb0ELb0ELi32E19rocblas_complex_numIdEPKPKS1_PKPS1_EvbiiT2_T3_lllSA_lllT4_llli,@function
_ZL24rocblas_symm_hemm_kernelILb0ELb0ELi32E19rocblas_complex_numIdEPKPKS1_PKPS1_EvbiiT2_T3_lllSA_lllT4_llli: ; @_ZL24rocblas_symm_hemm_kernelILb0ELb0ELi32E19rocblas_complex_numIdEPKPKS1_PKPS1_EvbiiT2_T3_lllSA_lllT4_llli
; %bb.0:
	s_load_b256 s[4:11], s[0:1], 0x10
	s_wait_kmcnt 0x0
	v_cmp_eq_f64_e64 s2, s[4:5], 0
	v_cmp_eq_f64_e64 s3, s[6:7], 0
	s_and_b32 s2, s2, s3
	s_delay_alu instid0(SALU_CYCLE_1)
	s_and_b32 vcc_lo, exec_lo, s2
	s_cbranch_vccnz .LBB54_18
; %bb.1:
	s_load_b32 s3, s[0:1], 0x80
	s_lshr_b32 s24, ttmp7, 16
	s_wait_kmcnt 0x0
	s_cmp_ge_u32 s24, s3
	s_cbranch_scc1 .LBB54_18
; %bb.2:
	s_clause 0x5
	s_load_b96 s[20:22], s[0:1], 0x0
	s_load_b64 s[26:27], s[0:1], 0x30
	s_load_b64 s[28:29], s[0:1], 0x50
	s_load_b128 s[12:15], s[0:1], 0x40
	s_load_b64 s[30:31], s[0:1], 0x70
	s_load_b128 s[16:19], s[0:1], 0x60
	v_and_b32_e32 v16, 0x3ff, v0
	v_bfe_u32 v15, v0, 10, 10
	s_add_nc_u64 s[34:35], s[0:1], 0x88
	s_mov_b32 s25, 0
	s_delay_alu instid0(VALU_DEP_2) | instskip(NEXT) | instid1(VALU_DEP_2)
	v_lshl_add_u32 v8, ttmp9, 5, v16
	v_lshlrev_b32_e32 v0, 4, v15
	v_lshlrev_b32_e32 v17, 9, v16
	s_delay_alu instid0(VALU_DEP_3) | instskip(NEXT) | instid1(VALU_DEP_3)
	v_ashrrev_i32_e32 v9, 31, v8
	v_or_b32_e32 v18, 0x4000, v0
	s_delay_alu instid0(VALU_DEP_3) | instskip(NEXT) | instid1(VALU_DEP_3)
	v_add_nc_u32_e32 v19, v17, v0
	v_lshlrev_b64_e32 v[9:10], 4, v[8:9]
	s_wait_kmcnt 0x0
	s_bitcmp1_b32 s20, 0
	v_add_nc_u32_e32 v20, v18, v17
	s_cselect_b32 s0, -1, 0
	s_add_co_i32 s1, s22, -1
	s_wait_alu 0xfffe
	s_and_b32 s20, ttmp7, 0xffff
	s_ashr_i32 s2, s1, 31
	s_delay_alu instid0(SALU_CYCLE_1) | instskip(NEXT) | instid1(SALU_CYCLE_1)
	s_lshr_b32 s2, s2, 27
	s_add_co_i32 s1, s1, s2
	s_wait_alu 0xfffe
	s_ashr_i32 s23, s1, 5
	v_cmp_gt_i32_e64 s1, s21, v8
	s_cmp_le_i32 s20, s23
	s_cselect_b32 s33, -1, 0
	s_cmp_gt_i32 s21, 0
	s_cselect_b32 s40, -1, 0
	s_lshl_b64 s[10:11], s[10:11], 4
	s_lshl_b64 s[14:15], s[14:15], 4
	;; [unrolled: 1-line block ×3, first 2 shown]
	s_branch .LBB54_4
.LBB54_3:                               ;   in Loop: Header=BB54_4 Depth=1
	s_add_co_i32 s24, s24, 0x10000
	s_delay_alu instid0(SALU_CYCLE_1)
	s_cmp_lt_u32 s24, s3
	s_cbranch_scc0 .LBB54_18
.LBB54_4:                               ; =>This Loop Header: Depth=1
                                        ;     Child Loop BB54_7 Depth 2
                                        ;       Child Loop BB54_10 Depth 3
                                        ;         Child Loop BB54_16 Depth 4
	s_and_not1_b32 vcc_lo, exec_lo, s33
	s_wait_alu 0xfffe
	s_cbranch_vccnz .LBB54_3
; %bb.5:                                ;   in Loop: Header=BB54_4 Depth=1
	s_lshl_b64 s[36:37], s[24:25], 3
	s_wait_alu 0xfffe
	s_add_nc_u64 s[38:39], s[16:17], s[36:37]
	s_add_nc_u64 s[42:43], s[8:9], s[36:37]
	s_load_b64 s[38:39], s[38:39], 0x0
	s_add_nc_u64 s[36:37], s[12:13], s[36:37]
	s_load_b64 s[42:43], s[42:43], 0x0
	s_load_b64 s[44:45], s[36:37], 0x0
	s_load_b32 s41, s[34:35], 0x4
	s_wait_kmcnt 0x0
	s_add_nc_u64 s[36:37], s[38:39], s[18:19]
	s_add_nc_u64 s[38:39], s[44:45], s[14:15]
	s_wait_alu 0xfffe
	v_add_co_u32 v21, vcc_lo, s36, v9
	s_wait_alu 0xfffd
	v_add_co_ci_u32_e64 v22, null, s37, v10, vcc_lo
	s_add_nc_u64 s[36:37], s[42:43], s[10:11]
	s_mov_b32 s42, s20
	s_branch .LBB54_7
.LBB54_6:                               ;   in Loop: Header=BB54_7 Depth=2
	s_add_co_i32 s42, s42, s41
	s_wait_alu 0xfffe
	s_cmp_gt_i32 s42, s23
	s_cbranch_scc1 .LBB54_3
.LBB54_7:                               ;   Parent Loop BB54_4 Depth=1
                                        ; =>  This Loop Header: Depth=2
                                        ;       Child Loop BB54_10 Depth 3
                                        ;         Child Loop BB54_16 Depth 4
	s_and_not1_b32 vcc_lo, exec_lo, s40
	s_wait_alu 0xfffe
	s_cbranch_vccnz .LBB54_6
; %bb.8:                                ;   in Loop: Header=BB54_7 Depth=2
	v_lshl_add_u32 v4, s42, 5, v15
	s_mov_b32 s44, 0
	s_delay_alu instid0(VALU_DEP_1) | instskip(SKIP_3) | instid1(VALU_DEP_4)
	v_ashrrev_i32_e32 v5, 31, v4
	v_mul_lo_u32 v6, s29, v4
	v_mad_co_u64_u32 v[0:1], null, s28, v4, 0
	v_mul_lo_u32 v11, s31, v4
	v_mul_lo_u32 v7, s28, v5
	v_mad_co_u64_u32 v[2:3], null, s30, v4, 0
	v_mul_lo_u32 v5, s30, v5
	v_cmp_gt_i32_e32 vcc_lo, s22, v4
	s_delay_alu instid0(VALU_DEP_4) | instskip(SKIP_1) | instid1(VALU_DEP_3)
	v_add3_u32 v1, v1, v7, v6
	s_and_b32 s43, s1, vcc_lo
	v_add3_u32 v3, v3, v5, v11
	s_delay_alu instid0(VALU_DEP_2) | instskip(NEXT) | instid1(VALU_DEP_2)
	v_lshlrev_b64_e32 v[0:1], 4, v[0:1]
	v_lshlrev_b64_e32 v[2:3], 4, v[2:3]
	s_delay_alu instid0(VALU_DEP_2) | instskip(SKIP_1) | instid1(VALU_DEP_3)
	v_add_co_u32 v23, s2, s38, v0
	s_wait_alu 0xf1ff
	v_add_co_ci_u32_e64 v24, null, s39, v1, s2
	s_delay_alu instid0(VALU_DEP_3)
	v_add_co_u32 v11, s2, v21, v2
	s_wait_alu 0xf1ff
	v_add_co_ci_u32_e64 v12, null, v22, v3, s2
	s_branch .LBB54_10
.LBB54_9:                               ;   in Loop: Header=BB54_10 Depth=3
	s_wait_alu 0xfffe
	s_or_b32 exec_lo, exec_lo, s2
	s_add_co_i32 s44, s44, 32
	s_wait_storecnt 0x0
	s_wait_loadcnt_dscnt 0x0
	s_wait_alu 0xfffe
	s_cmp_ge_i32 s44, s21
	s_barrier_signal -1
	s_barrier_wait -1
	global_inv scope:SCOPE_SE
	s_cbranch_scc1 .LBB54_6
.LBB54_10:                              ;   Parent Loop BB54_4 Depth=1
                                        ;     Parent Loop BB54_7 Depth=2
                                        ; =>    This Loop Header: Depth=3
                                        ;         Child Loop BB54_16 Depth 4
	s_wait_alu 0xfffe
	v_add_nc_u32_e32 v0, s44, v15
	v_mov_b32_e32 v4, 0
	v_mov_b32_e32 v5, 0
	s_mov_b32 s45, exec_lo
	v_mov_b32_e32 v6, 0
	v_cndmask_b32_e64 v1, v0, v8, s0
	v_cndmask_b32_e64 v2, v8, v0, s0
	v_mov_b32_e32 v7, 0
	s_delay_alu instid0(VALU_DEP_2) | instskip(SKIP_1) | instid1(VALU_DEP_1)
	v_cmp_gt_i32_e64 s2, v1, v2
	s_wait_alu 0xf1ff
	v_cndmask_b32_e64 v2, v8, v0, s2
	v_cndmask_b32_e64 v3, v0, v8, s2
	v_mov_b32_e32 v0, 0
	v_mov_b32_e32 v1, 0
	s_delay_alu instid0(VALU_DEP_3) | instskip(NEXT) | instid1(VALU_DEP_1)
	v_max_i32_e32 v13, v2, v3
	v_cmpx_gt_i32_e64 s21, v13
	s_cbranch_execz .LBB54_12
; %bb.11:                               ;   in Loop: Header=BB54_10 Depth=3
	v_ashrrev_i32_e32 v6, 31, v3
	v_mul_lo_u32 v7, s27, v3
	v_mad_co_u64_u32 v[4:5], null, s26, v3, 0
	s_delay_alu instid0(VALU_DEP_3) | instskip(NEXT) | instid1(VALU_DEP_1)
	v_mul_lo_u32 v3, s26, v6
	v_add3_u32 v5, v5, v3, v7
	v_ashrrev_i32_e32 v3, 31, v2
	s_delay_alu instid0(VALU_DEP_2) | instskip(NEXT) | instid1(VALU_DEP_2)
	v_lshlrev_b64_e32 v[4:5], 4, v[4:5]
	v_lshlrev_b64_e32 v[2:3], 4, v[2:3]
	s_delay_alu instid0(VALU_DEP_2) | instskip(SKIP_1) | instid1(VALU_DEP_3)
	v_add_co_u32 v4, s2, s36, v4
	s_wait_alu 0xf1ff
	v_add_co_ci_u32_e64 v5, null, s37, v5, s2
	s_delay_alu instid0(VALU_DEP_2) | instskip(SKIP_1) | instid1(VALU_DEP_2)
	v_add_co_u32 v2, s2, v4, v2
	s_wait_alu 0xf1ff
	v_add_co_ci_u32_e64 v3, null, v5, v3, s2
	flat_load_b128 v[4:7], v[2:3]
.LBB54_12:                              ;   in Loop: Header=BB54_10 Depth=3
	s_wait_alu 0xfffe
	s_or_b32 exec_lo, exec_lo, s45
	v_dual_mov_b32 v2, 0 :: v_dual_add_nc_u32 v13, s44, v16
	v_mov_b32_e32 v3, 0
	s_wait_loadcnt_dscnt 0x0
	ds_store_b128 v19, v[4:7]
	v_cmp_gt_i32_e64 s2, s21, v13
	s_and_b32 s2, s2, vcc_lo
	s_wait_alu 0xfffe
	s_and_saveexec_b32 s45, s2
	s_cbranch_execz .LBB54_14
; %bb.13:                               ;   in Loop: Header=BB54_10 Depth=3
	v_ashrrev_i32_e32 v14, 31, v13
	s_delay_alu instid0(VALU_DEP_1) | instskip(NEXT) | instid1(VALU_DEP_1)
	v_lshlrev_b64_e32 v[0:1], 4, v[13:14]
	v_add_co_u32 v0, s2, v23, v0
	s_wait_alu 0xf1ff
	s_delay_alu instid0(VALU_DEP_2)
	v_add_co_ci_u32_e64 v1, null, v24, v1, s2
	flat_load_b128 v[0:3], v[0:1]
.LBB54_14:                              ;   in Loop: Header=BB54_10 Depth=3
	s_wait_alu 0xfffe
	s_or_b32 exec_lo, exec_lo, s45
	s_wait_loadcnt_dscnt 0x0
	ds_store_b128 v20, v[0:3]
	s_wait_dscnt 0x0
	s_barrier_signal -1
	s_barrier_wait -1
	global_inv scope:SCOPE_SE
	s_and_saveexec_b32 s2, s43
	s_cbranch_execz .LBB54_9
; %bb.15:                               ;   in Loop: Header=BB54_10 Depth=3
	v_mov_b32_e32 v0, 0
	v_dual_mov_b32 v1, 0 :: v_dual_mov_b32 v2, 0
	v_dual_mov_b32 v3, 0 :: v_dual_mov_b32 v4, v18
	s_mov_b32 s45, 0
.LBB54_16:                              ;   Parent Loop BB54_4 Depth=1
                                        ;     Parent Loop BB54_7 Depth=2
                                        ;       Parent Loop BB54_10 Depth=3
                                        ; =>      This Inner Loop Header: Depth=4
	s_wait_alu 0xfffe
	v_add_nc_u32_e32 v7, s45, v17
	s_addk_co_i32 s45, 0x80
	ds_load_b128 v[25:28], v4
	ds_load_b128 v[29:32], v7
	ds_load_b128 v[33:36], v4 offset:512
	ds_load_b128 v[37:40], v7 offset:16
	s_wait_alu 0xfffe
	s_cmp_eq_u32 s45, 0x200
	s_wait_dscnt 0x2
	v_mul_f64_e32 v[5:6], v[27:28], v[31:32]
	v_mul_f64_e32 v[13:14], v[25:26], v[31:32]
	s_wait_dscnt 0x0
	v_mul_f64_e32 v[47:48], v[35:36], v[39:40]
	v_mul_f64_e32 v[49:50], v[33:34], v[39:40]
	s_delay_alu instid0(VALU_DEP_4) | instskip(NEXT) | instid1(VALU_DEP_4)
	v_fma_f64 v[5:6], v[25:26], v[29:30], -v[5:6]
	v_fma_f64 v[13:14], v[27:28], v[29:30], v[13:14]
	ds_load_b128 v[25:28], v4 offset:1024
	ds_load_b128 v[29:32], v7 offset:32
	;; [unrolled: 1-line block ×4, first 2 shown]
	v_fma_f64 v[33:34], v[33:34], v[37:38], -v[47:48]
	v_fma_f64 v[35:36], v[35:36], v[37:38], v[49:50]
	s_wait_dscnt 0x2
	v_mul_f64_e32 v[51:52], v[27:28], v[31:32]
	v_mul_f64_e32 v[31:32], v[25:26], v[31:32]
	v_add_f64_e32 v[0:1], v[0:1], v[5:6]
	v_add_f64_e32 v[2:3], v[2:3], v[13:14]
	s_wait_dscnt 0x0
	v_mul_f64_e32 v[5:6], v[41:42], v[45:46]
	v_mul_f64_e32 v[13:14], v[39:40], v[45:46]
	v_fma_f64 v[37:38], v[25:26], v[29:30], -v[51:52]
	v_fma_f64 v[45:46], v[27:28], v[29:30], v[31:32]
	v_add_f64_e32 v[47:48], v[0:1], v[33:34]
	v_add_f64_e32 v[49:50], v[2:3], v[35:36]
	ds_load_b128 v[0:3], v4 offset:2048
	ds_load_b128 v[25:28], v7 offset:64
	;; [unrolled: 1-line block ×4, first 2 shown]
	v_fma_f64 v[5:6], v[39:40], v[43:44], -v[5:6]
	v_fma_f64 v[13:14], v[41:42], v[43:44], v[13:14]
	s_wait_dscnt 0x2
	v_mul_f64_e32 v[51:52], v[2:3], v[27:28]
	v_mul_f64_e32 v[27:28], v[0:1], v[27:28]
	s_wait_dscnt 0x0
	v_mul_f64_e32 v[43:44], v[31:32], v[35:36]
	v_add_f64_e32 v[37:38], v[47:48], v[37:38]
	v_add_f64_e32 v[39:40], v[49:50], v[45:46]
	v_mul_f64_e32 v[45:46], v[29:30], v[35:36]
	v_fma_f64 v[47:48], v[0:1], v[25:26], -v[51:52]
	v_fma_f64 v[49:50], v[2:3], v[25:26], v[27:28]
	v_fma_f64 v[29:30], v[29:30], v[33:34], -v[43:44]
	v_add_f64_e32 v[5:6], v[37:38], v[5:6]
	v_add_f64_e32 v[13:14], v[39:40], v[13:14]
	ds_load_b128 v[0:3], v4 offset:3072
	ds_load_b128 v[25:28], v7 offset:96
	;; [unrolled: 1-line block ×4, first 2 shown]
	v_fma_f64 v[31:32], v[31:32], v[33:34], v[45:46]
	v_add_nc_u32_e32 v4, 0x1000, v4
	s_wait_dscnt 0x2
	v_mul_f64_e32 v[51:52], v[2:3], v[27:28]
	v_mul_f64_e32 v[27:28], v[0:1], v[27:28]
	s_wait_dscnt 0x0
	v_mul_f64_e32 v[33:34], v[37:38], v[41:42]
	v_mul_f64_e32 v[41:42], v[35:36], v[41:42]
	v_add_f64_e32 v[5:6], v[5:6], v[47:48]
	v_add_f64_e32 v[13:14], v[13:14], v[49:50]
	v_fma_f64 v[0:1], v[0:1], v[25:26], -v[51:52]
	v_fma_f64 v[2:3], v[2:3], v[25:26], v[27:28]
	v_fma_f64 v[25:26], v[35:36], v[39:40], -v[33:34]
	v_fma_f64 v[27:28], v[37:38], v[39:40], v[41:42]
	v_add_f64_e32 v[5:6], v[5:6], v[29:30]
	v_add_f64_e32 v[13:14], v[13:14], v[31:32]
	s_delay_alu instid0(VALU_DEP_2) | instskip(NEXT) | instid1(VALU_DEP_2)
	v_add_f64_e32 v[0:1], v[5:6], v[0:1]
	v_add_f64_e32 v[2:3], v[13:14], v[2:3]
	s_delay_alu instid0(VALU_DEP_2) | instskip(NEXT) | instid1(VALU_DEP_2)
	v_add_f64_e32 v[0:1], v[0:1], v[25:26]
	v_add_f64_e32 v[2:3], v[2:3], v[27:28]
	s_cbranch_scc0 .LBB54_16
; %bb.17:                               ;   in Loop: Header=BB54_10 Depth=3
	flat_load_b128 v[4:7], v[11:12]
	v_mul_f64_e32 v[13:14], s[6:7], v[2:3]
	v_mul_f64_e32 v[25:26], s[6:7], v[0:1]
	s_delay_alu instid0(VALU_DEP_2) | instskip(NEXT) | instid1(VALU_DEP_2)
	v_fma_f64 v[0:1], s[4:5], v[0:1], -v[13:14]
	v_fma_f64 v[2:3], s[4:5], v[2:3], v[25:26]
	s_wait_loadcnt_dscnt 0x0
	s_delay_alu instid0(VALU_DEP_2) | instskip(NEXT) | instid1(VALU_DEP_2)
	v_add_f64_e32 v[0:1], v[0:1], v[4:5]
	v_add_f64_e32 v[2:3], v[2:3], v[6:7]
	flat_store_b128 v[11:12], v[0:3]
	s_branch .LBB54_9
.LBB54_18:
	s_endpgm
	.section	.rodata,"a",@progbits
	.p2align	6, 0x0
	.amdhsa_kernel _ZL24rocblas_symm_hemm_kernelILb0ELb0ELi32E19rocblas_complex_numIdEPKPKS1_PKPS1_EvbiiT2_T3_lllSA_lllT4_llli
		.amdhsa_group_segment_fixed_size 32768
		.amdhsa_private_segment_fixed_size 0
		.amdhsa_kernarg_size 392
		.amdhsa_user_sgpr_count 2
		.amdhsa_user_sgpr_dispatch_ptr 0
		.amdhsa_user_sgpr_queue_ptr 0
		.amdhsa_user_sgpr_kernarg_segment_ptr 1
		.amdhsa_user_sgpr_dispatch_id 0
		.amdhsa_user_sgpr_private_segment_size 0
		.amdhsa_wavefront_size32 1
		.amdhsa_uses_dynamic_stack 0
		.amdhsa_enable_private_segment 0
		.amdhsa_system_sgpr_workgroup_id_x 1
		.amdhsa_system_sgpr_workgroup_id_y 1
		.amdhsa_system_sgpr_workgroup_id_z 1
		.amdhsa_system_sgpr_workgroup_info 0
		.amdhsa_system_vgpr_workitem_id 1
		.amdhsa_next_free_vgpr 53
		.amdhsa_next_free_sgpr 46
		.amdhsa_reserve_vcc 1
		.amdhsa_float_round_mode_32 0
		.amdhsa_float_round_mode_16_64 0
		.amdhsa_float_denorm_mode_32 3
		.amdhsa_float_denorm_mode_16_64 3
		.amdhsa_fp16_overflow 0
		.amdhsa_workgroup_processor_mode 1
		.amdhsa_memory_ordered 1
		.amdhsa_forward_progress 1
		.amdhsa_inst_pref_size 13
		.amdhsa_round_robin_scheduling 0
		.amdhsa_exception_fp_ieee_invalid_op 0
		.amdhsa_exception_fp_denorm_src 0
		.amdhsa_exception_fp_ieee_div_zero 0
		.amdhsa_exception_fp_ieee_overflow 0
		.amdhsa_exception_fp_ieee_underflow 0
		.amdhsa_exception_fp_ieee_inexact 0
		.amdhsa_exception_int_div_zero 0
	.end_amdhsa_kernel
	.section	.text._ZL24rocblas_symm_hemm_kernelILb0ELb0ELi32E19rocblas_complex_numIdEPKPKS1_PKPS1_EvbiiT2_T3_lllSA_lllT4_llli,"axG",@progbits,_ZL24rocblas_symm_hemm_kernelILb0ELb0ELi32E19rocblas_complex_numIdEPKPKS1_PKPS1_EvbiiT2_T3_lllSA_lllT4_llli,comdat
.Lfunc_end54:
	.size	_ZL24rocblas_symm_hemm_kernelILb0ELb0ELi32E19rocblas_complex_numIdEPKPKS1_PKPS1_EvbiiT2_T3_lllSA_lllT4_llli, .Lfunc_end54-_ZL24rocblas_symm_hemm_kernelILb0ELb0ELi32E19rocblas_complex_numIdEPKPKS1_PKPS1_EvbiiT2_T3_lllSA_lllT4_llli
                                        ; -- End function
	.set _ZL24rocblas_symm_hemm_kernelILb0ELb0ELi32E19rocblas_complex_numIdEPKPKS1_PKPS1_EvbiiT2_T3_lllSA_lllT4_llli.num_vgpr, 53
	.set _ZL24rocblas_symm_hemm_kernelILb0ELb0ELi32E19rocblas_complex_numIdEPKPKS1_PKPS1_EvbiiT2_T3_lllSA_lllT4_llli.num_agpr, 0
	.set _ZL24rocblas_symm_hemm_kernelILb0ELb0ELi32E19rocblas_complex_numIdEPKPKS1_PKPS1_EvbiiT2_T3_lllSA_lllT4_llli.numbered_sgpr, 46
	.set _ZL24rocblas_symm_hemm_kernelILb0ELb0ELi32E19rocblas_complex_numIdEPKPKS1_PKPS1_EvbiiT2_T3_lllSA_lllT4_llli.num_named_barrier, 0
	.set _ZL24rocblas_symm_hemm_kernelILb0ELb0ELi32E19rocblas_complex_numIdEPKPKS1_PKPS1_EvbiiT2_T3_lllSA_lllT4_llli.private_seg_size, 0
	.set _ZL24rocblas_symm_hemm_kernelILb0ELb0ELi32E19rocblas_complex_numIdEPKPKS1_PKPS1_EvbiiT2_T3_lllSA_lllT4_llli.uses_vcc, 1
	.set _ZL24rocblas_symm_hemm_kernelILb0ELb0ELi32E19rocblas_complex_numIdEPKPKS1_PKPS1_EvbiiT2_T3_lllSA_lllT4_llli.uses_flat_scratch, 0
	.set _ZL24rocblas_symm_hemm_kernelILb0ELb0ELi32E19rocblas_complex_numIdEPKPKS1_PKPS1_EvbiiT2_T3_lllSA_lllT4_llli.has_dyn_sized_stack, 0
	.set _ZL24rocblas_symm_hemm_kernelILb0ELb0ELi32E19rocblas_complex_numIdEPKPKS1_PKPS1_EvbiiT2_T3_lllSA_lllT4_llli.has_recursion, 0
	.set _ZL24rocblas_symm_hemm_kernelILb0ELb0ELi32E19rocblas_complex_numIdEPKPKS1_PKPS1_EvbiiT2_T3_lllSA_lllT4_llli.has_indirect_call, 0
	.section	.AMDGPU.csdata,"",@progbits
; Kernel info:
; codeLenInByte = 1604
; TotalNumSgprs: 48
; NumVgprs: 53
; ScratchSize: 0
; MemoryBound: 1
; FloatMode: 240
; IeeeMode: 1
; LDSByteSize: 32768 bytes/workgroup (compile time only)
; SGPRBlocks: 0
; VGPRBlocks: 6
; NumSGPRsForWavesPerEU: 48
; NumVGPRsForWavesPerEU: 53
; Occupancy: 16
; WaveLimiterHint : 1
; COMPUTE_PGM_RSRC2:SCRATCH_EN: 0
; COMPUTE_PGM_RSRC2:USER_SGPR: 2
; COMPUTE_PGM_RSRC2:TRAP_HANDLER: 0
; COMPUTE_PGM_RSRC2:TGID_X_EN: 1
; COMPUTE_PGM_RSRC2:TGID_Y_EN: 1
; COMPUTE_PGM_RSRC2:TGID_Z_EN: 1
; COMPUTE_PGM_RSRC2:TIDIG_COMP_CNT: 1
	.section	.text._ZL24rocblas_symm_hemm_kernelILb0ELb1ELi32E19rocblas_complex_numIdEPKPKS1_PKPS1_EvbiiT2_T3_lllSA_lllT4_llli,"axG",@progbits,_ZL24rocblas_symm_hemm_kernelILb0ELb1ELi32E19rocblas_complex_numIdEPKPKS1_PKPS1_EvbiiT2_T3_lllSA_lllT4_llli,comdat
	.globl	_ZL24rocblas_symm_hemm_kernelILb0ELb1ELi32E19rocblas_complex_numIdEPKPKS1_PKPS1_EvbiiT2_T3_lllSA_lllT4_llli ; -- Begin function _ZL24rocblas_symm_hemm_kernelILb0ELb1ELi32E19rocblas_complex_numIdEPKPKS1_PKPS1_EvbiiT2_T3_lllSA_lllT4_llli
	.p2align	8
	.type	_ZL24rocblas_symm_hemm_kernelILb0ELb1ELi32E19rocblas_complex_numIdEPKPKS1_PKPS1_EvbiiT2_T3_lllSA_lllT4_llli,@function
_ZL24rocblas_symm_hemm_kernelILb0ELb1ELi32E19rocblas_complex_numIdEPKPKS1_PKPS1_EvbiiT2_T3_lllSA_lllT4_llli: ; @_ZL24rocblas_symm_hemm_kernelILb0ELb1ELi32E19rocblas_complex_numIdEPKPKS1_PKPS1_EvbiiT2_T3_lllSA_lllT4_llli
; %bb.0:
	s_load_b256 s[4:11], s[0:1], 0x10
	s_wait_kmcnt 0x0
	v_cmp_eq_f64_e64 s2, s[4:5], 0
	v_cmp_eq_f64_e64 s3, s[6:7], 0
	s_and_b32 s2, s2, s3
	s_delay_alu instid0(SALU_CYCLE_1)
	s_and_b32 vcc_lo, exec_lo, s2
	s_cbranch_vccnz .LBB55_18
; %bb.1:
	s_load_b32 s3, s[0:1], 0x80
	s_lshr_b32 s24, ttmp7, 16
	s_wait_kmcnt 0x0
	s_cmp_ge_u32 s24, s3
	s_cbranch_scc1 .LBB55_18
; %bb.2:
	s_clause 0x5
	s_load_b96 s[20:22], s[0:1], 0x0
	s_load_b64 s[26:27], s[0:1], 0x30
	s_load_b64 s[28:29], s[0:1], 0x50
	s_load_b128 s[12:15], s[0:1], 0x40
	s_load_b64 s[30:31], s[0:1], 0x70
	s_load_b128 s[16:19], s[0:1], 0x60
	v_and_b32_e32 v15, 0x3ff, v0
	v_bfe_u32 v14, v0, 10, 10
	s_add_nc_u64 s[34:35], s[0:1], 0x88
	s_mov_b32 s25, 0
	s_delay_alu instid0(VALU_DEP_2) | instskip(NEXT) | instid1(VALU_DEP_2)
	v_lshl_add_u32 v0, ttmp9, 5, v15
	v_lshlrev_b32_e32 v2, 4, v14
	v_lshlrev_b32_e32 v16, 9, v15
	s_delay_alu instid0(VALU_DEP_3) | instskip(NEXT) | instid1(VALU_DEP_3)
	v_ashrrev_i32_e32 v1, 31, v0
	v_or_b32_e32 v17, 0x4000, v2
	s_delay_alu instid0(VALU_DEP_3) | instskip(NEXT) | instid1(VALU_DEP_3)
	v_add_nc_u32_e32 v18, v16, v2
	v_lshlrev_b64_e32 v[8:9], 4, v[0:1]
	s_wait_kmcnt 0x0
	s_bitcmp1_b32 s20, 0
	v_add_nc_u32_e32 v19, v17, v16
	s_cselect_b32 s0, -1, 0
	s_add_co_i32 s1, s22, -1
	s_wait_alu 0xfffe
	s_and_b32 s23, ttmp7, 0xffff
	s_ashr_i32 s2, s1, 31
	s_delay_alu instid0(SALU_CYCLE_1) | instskip(NEXT) | instid1(SALU_CYCLE_1)
	s_lshr_b32 s2, s2, 27
	s_add_co_i32 s1, s1, s2
	s_wait_alu 0xfffe
	s_ashr_i32 s33, s1, 5
	v_cmp_gt_i32_e64 s1, s21, v0
	s_cmp_le_i32 s23, s33
	s_cselect_b32 s36, -1, 0
	s_cmp_gt_i32 s22, 0
	s_cselect_b32 s37, -1, 0
	s_lshl_b64 s[10:11], s[10:11], 4
	s_lshl_b64 s[18:19], s[18:19], 4
	;; [unrolled: 1-line block ×3, first 2 shown]
	s_branch .LBB55_4
.LBB55_3:                               ;   in Loop: Header=BB55_4 Depth=1
	s_add_co_i32 s24, s24, 0x10000
	s_delay_alu instid0(SALU_CYCLE_1)
	s_cmp_lt_u32 s24, s3
	s_cbranch_scc0 .LBB55_18
.LBB55_4:                               ; =>This Loop Header: Depth=1
                                        ;     Child Loop BB55_7 Depth 2
                                        ;       Child Loop BB55_10 Depth 3
                                        ;         Child Loop BB55_16 Depth 4
	s_and_not1_b32 vcc_lo, exec_lo, s36
	s_wait_alu 0xfffe
	s_cbranch_vccnz .LBB55_3
; %bb.5:                                ;   in Loop: Header=BB55_4 Depth=1
	s_lshl_b64 s[20:21], s[24:25], 3
	s_wait_alu 0xfffe
	s_add_nc_u64 s[38:39], s[16:17], s[20:21]
	s_add_nc_u64 s[40:41], s[12:13], s[20:21]
	s_load_b64 s[42:43], s[38:39], 0x0
	s_load_b64 s[40:41], s[40:41], 0x0
	s_add_nc_u64 s[20:21], s[8:9], s[20:21]
	s_load_b64 s[20:21], s[20:21], 0x0
	s_load_b32 s38, s[34:35], 0x4
	s_mov_b32 s39, s23
	s_wait_kmcnt 0x0
	s_add_nc_u64 s[42:43], s[42:43], s[18:19]
	s_add_nc_u64 s[40:41], s[40:41], s[14:15]
	;; [unrolled: 1-line block ×3, first 2 shown]
	s_wait_alu 0xfffe
	v_add_co_u32 v20, vcc_lo, s40, v8
	s_wait_alu 0xfffd
	v_add_co_ci_u32_e64 v21, null, s41, v9, vcc_lo
	v_add_co_u32 v22, vcc_lo, s42, v8
	s_wait_alu 0xfffd
	v_add_co_ci_u32_e64 v23, null, s43, v9, vcc_lo
	s_branch .LBB55_7
.LBB55_6:                               ;   in Loop: Header=BB55_7 Depth=2
	s_add_co_i32 s39, s39, s38
	s_wait_alu 0xfffe
	s_cmp_gt_i32 s39, s33
	s_cbranch_scc1 .LBB55_3
.LBB55_7:                               ;   Parent Loop BB55_4 Depth=1
                                        ; =>  This Loop Header: Depth=2
                                        ;       Child Loop BB55_10 Depth 3
                                        ;         Child Loop BB55_16 Depth 4
	s_and_not1_b32 vcc_lo, exec_lo, s37
	s_wait_alu 0xfffe
	s_cbranch_vccnz .LBB55_6
; %bb.8:                                ;   in Loop: Header=BB55_7 Depth=2
	v_lshl_add_u32 v24, s39, 5, v14
	s_mov_b32 s40, 0
	s_delay_alu instid0(VALU_DEP_1) | instskip(SKIP_3) | instid1(VALU_DEP_4)
	v_ashrrev_i32_e32 v2, 31, v24
	v_mul_lo_u32 v3, s31, v24
	v_mad_co_u64_u32 v[0:1], null, s30, v24, 0
	v_cmp_gt_i32_e32 vcc_lo, s22, v24
	v_mul_lo_u32 v2, s30, v2
	s_delay_alu instid0(VALU_DEP_1) | instskip(NEXT) | instid1(VALU_DEP_1)
	v_add3_u32 v1, v1, v2, v3
	v_lshlrev_b64_e32 v[0:1], 4, v[0:1]
	s_delay_alu instid0(VALU_DEP_1) | instskip(SKIP_1) | instid1(VALU_DEP_2)
	v_add_co_u32 v10, s2, v22, v0
	s_wait_alu 0xf1ff
	v_add_co_ci_u32_e64 v11, null, v23, v1, s2
	s_and_b32 s2, s1, vcc_lo
	s_branch .LBB55_10
.LBB55_9:                               ;   in Loop: Header=BB55_10 Depth=3
	s_wait_alu 0xfffe
	s_or_b32 exec_lo, exec_lo, s41
	s_add_co_i32 s40, s40, 32
	s_wait_storecnt 0x0
	s_wait_loadcnt_dscnt 0x0
	s_wait_alu 0xfffe
	s_cmp_ge_i32 s40, s22
	s_barrier_signal -1
	s_barrier_wait -1
	global_inv scope:SCOPE_SE
	s_cbranch_scc1 .LBB55_6
.LBB55_10:                              ;   Parent Loop BB55_4 Depth=1
                                        ;     Parent Loop BB55_7 Depth=2
                                        ; =>    This Loop Header: Depth=3
                                        ;         Child Loop BB55_16 Depth 4
	s_wait_alu 0xfffe
	v_add_nc_u32_e32 v2, s40, v14
	v_mov_b32_e32 v0, 0
	v_dual_mov_b32 v1, 0 :: v_dual_mov_b32 v4, 0
	v_mov_b32_e32 v6, 0
	s_delay_alu instid0(VALU_DEP_4)
	v_cmp_gt_i32_e32 vcc_lo, s22, v2
	v_mov_b32_e32 v5, 0
	v_mov_b32_e32 v7, 0
	s_and_b32 s42, s1, vcc_lo
	s_wait_alu 0xfffe
	s_and_saveexec_b32 s41, s42
	s_cbranch_execz .LBB55_12
; %bb.11:                               ;   in Loop: Header=BB55_10 Depth=3
	v_ashrrev_i32_e32 v4, 31, v2
	v_mul_lo_u32 v5, s29, v2
	v_mad_co_u64_u32 v[2:3], null, s28, v2, 0
	s_delay_alu instid0(VALU_DEP_3) | instskip(NEXT) | instid1(VALU_DEP_1)
	v_mul_lo_u32 v4, s28, v4
	v_add3_u32 v3, v3, v4, v5
	s_delay_alu instid0(VALU_DEP_1) | instskip(NEXT) | instid1(VALU_DEP_1)
	v_lshlrev_b64_e32 v[2:3], 4, v[2:3]
	v_add_co_u32 v2, vcc_lo, v20, v2
	s_wait_alu 0xfffd
	s_delay_alu instid0(VALU_DEP_2)
	v_add_co_ci_u32_e64 v3, null, v21, v3, vcc_lo
	flat_load_b128 v[4:7], v[2:3]
.LBB55_12:                              ;   in Loop: Header=BB55_10 Depth=3
	s_wait_alu 0xfffe
	s_or_b32 exec_lo, exec_lo, s41
	v_add_nc_u32_e32 v2, s40, v15
	s_mov_b32 s41, exec_lo
	s_wait_loadcnt_dscnt 0x0
	ds_store_b128 v18, v[4:7]
	v_cndmask_b32_e64 v3, v24, v2, s0
	v_cndmask_b32_e64 v12, v2, v24, s0
	s_delay_alu instid0(VALU_DEP_1) | instskip(SKIP_4) | instid1(VALU_DEP_3)
	v_cmp_gt_i32_e32 vcc_lo, v3, v12
	s_wait_alu 0xfffd
	v_dual_cndmask_b32 v12, v2, v24 :: v_dual_cndmask_b32 v13, v24, v2
	v_mov_b32_e32 v2, 0
	v_mov_b32_e32 v3, 0
	v_max_i32_e32 v25, v12, v13
	s_delay_alu instid0(VALU_DEP_1)
	v_cmpx_gt_i32_e64 s22, v25
	s_cbranch_execz .LBB55_14
; %bb.13:                               ;   in Loop: Header=BB55_10 Depth=3
	v_ashrrev_i32_e32 v2, 31, v13
	v_mul_lo_u32 v3, s27, v13
	v_mad_co_u64_u32 v[0:1], null, s26, v13, 0
	v_ashrrev_i32_e32 v13, 31, v12
	s_delay_alu instid0(VALU_DEP_4) | instskip(NEXT) | instid1(VALU_DEP_1)
	v_mul_lo_u32 v2, s26, v2
	v_add3_u32 v1, v1, v2, v3
	s_delay_alu instid0(VALU_DEP_3) | instskip(NEXT) | instid1(VALU_DEP_2)
	v_lshlrev_b64_e32 v[2:3], 4, v[12:13]
	v_lshlrev_b64_e32 v[0:1], 4, v[0:1]
	s_delay_alu instid0(VALU_DEP_1) | instskip(SKIP_1) | instid1(VALU_DEP_2)
	v_add_co_u32 v0, vcc_lo, s20, v0
	s_wait_alu 0xfffd
	v_add_co_ci_u32_e64 v1, null, s21, v1, vcc_lo
	s_delay_alu instid0(VALU_DEP_2) | instskip(SKIP_1) | instid1(VALU_DEP_2)
	v_add_co_u32 v0, vcc_lo, v0, v2
	s_wait_alu 0xfffd
	v_add_co_ci_u32_e64 v1, null, v1, v3, vcc_lo
	flat_load_b128 v[0:3], v[0:1]
.LBB55_14:                              ;   in Loop: Header=BB55_10 Depth=3
	s_wait_alu 0xfffe
	s_or_b32 exec_lo, exec_lo, s41
	s_wait_loadcnt_dscnt 0x0
	ds_store_b128 v19, v[0:3]
	s_wait_dscnt 0x0
	s_barrier_signal -1
	s_barrier_wait -1
	global_inv scope:SCOPE_SE
	s_and_saveexec_b32 s41, s2
	s_cbranch_execz .LBB55_9
; %bb.15:                               ;   in Loop: Header=BB55_10 Depth=3
	v_mov_b32_e32 v0, 0
	v_dual_mov_b32 v1, 0 :: v_dual_mov_b32 v2, 0
	v_dual_mov_b32 v3, 0 :: v_dual_mov_b32 v4, v17
	s_mov_b32 s42, 0
.LBB55_16:                              ;   Parent Loop BB55_4 Depth=1
                                        ;     Parent Loop BB55_7 Depth=2
                                        ;       Parent Loop BB55_10 Depth=3
                                        ; =>      This Inner Loop Header: Depth=4
	s_wait_alu 0xfffe
	v_add_nc_u32_e32 v7, s42, v16
	s_addk_co_i32 s42, 0x80
	ds_load_b128 v[25:28], v4
	ds_load_b128 v[29:32], v7
	ds_load_b128 v[33:36], v4 offset:512
	ds_load_b128 v[37:40], v7 offset:16
	s_wait_alu 0xfffe
	s_cmp_eq_u32 s42, 0x200
	s_wait_dscnt 0x2
	v_mul_f64_e32 v[5:6], v[27:28], v[31:32]
	v_mul_f64_e32 v[12:13], v[25:26], v[31:32]
	s_wait_dscnt 0x0
	v_mul_f64_e32 v[47:48], v[35:36], v[39:40]
	v_mul_f64_e32 v[49:50], v[33:34], v[39:40]
	s_delay_alu instid0(VALU_DEP_4) | instskip(NEXT) | instid1(VALU_DEP_4)
	v_fma_f64 v[5:6], v[25:26], v[29:30], -v[5:6]
	v_fma_f64 v[12:13], v[27:28], v[29:30], v[12:13]
	ds_load_b128 v[25:28], v4 offset:1024
	ds_load_b128 v[29:32], v7 offset:32
	;; [unrolled: 1-line block ×4, first 2 shown]
	v_fma_f64 v[33:34], v[33:34], v[37:38], -v[47:48]
	v_fma_f64 v[35:36], v[35:36], v[37:38], v[49:50]
	s_wait_dscnt 0x2
	v_mul_f64_e32 v[51:52], v[27:28], v[31:32]
	v_mul_f64_e32 v[31:32], v[25:26], v[31:32]
	v_add_f64_e32 v[0:1], v[0:1], v[5:6]
	v_add_f64_e32 v[2:3], v[2:3], v[12:13]
	s_wait_dscnt 0x0
	v_mul_f64_e32 v[5:6], v[41:42], v[45:46]
	v_mul_f64_e32 v[12:13], v[39:40], v[45:46]
	v_fma_f64 v[37:38], v[25:26], v[29:30], -v[51:52]
	v_fma_f64 v[45:46], v[27:28], v[29:30], v[31:32]
	v_add_f64_e32 v[47:48], v[0:1], v[33:34]
	v_add_f64_e32 v[49:50], v[2:3], v[35:36]
	ds_load_b128 v[0:3], v4 offset:2048
	ds_load_b128 v[25:28], v7 offset:64
	;; [unrolled: 1-line block ×4, first 2 shown]
	v_fma_f64 v[5:6], v[39:40], v[43:44], -v[5:6]
	v_fma_f64 v[12:13], v[41:42], v[43:44], v[12:13]
	s_wait_dscnt 0x2
	v_mul_f64_e32 v[51:52], v[2:3], v[27:28]
	v_mul_f64_e32 v[27:28], v[0:1], v[27:28]
	s_wait_dscnt 0x0
	v_mul_f64_e32 v[43:44], v[31:32], v[35:36]
	v_add_f64_e32 v[37:38], v[47:48], v[37:38]
	v_add_f64_e32 v[39:40], v[49:50], v[45:46]
	v_mul_f64_e32 v[45:46], v[29:30], v[35:36]
	v_fma_f64 v[47:48], v[0:1], v[25:26], -v[51:52]
	v_fma_f64 v[49:50], v[2:3], v[25:26], v[27:28]
	v_fma_f64 v[29:30], v[29:30], v[33:34], -v[43:44]
	v_add_f64_e32 v[5:6], v[37:38], v[5:6]
	v_add_f64_e32 v[12:13], v[39:40], v[12:13]
	ds_load_b128 v[0:3], v4 offset:3072
	ds_load_b128 v[25:28], v7 offset:96
	;; [unrolled: 1-line block ×4, first 2 shown]
	v_fma_f64 v[31:32], v[31:32], v[33:34], v[45:46]
	v_add_nc_u32_e32 v4, 0x1000, v4
	s_wait_dscnt 0x2
	v_mul_f64_e32 v[51:52], v[2:3], v[27:28]
	v_mul_f64_e32 v[27:28], v[0:1], v[27:28]
	s_wait_dscnt 0x0
	v_mul_f64_e32 v[33:34], v[37:38], v[41:42]
	v_mul_f64_e32 v[41:42], v[35:36], v[41:42]
	v_add_f64_e32 v[5:6], v[5:6], v[47:48]
	v_add_f64_e32 v[12:13], v[12:13], v[49:50]
	v_fma_f64 v[0:1], v[0:1], v[25:26], -v[51:52]
	v_fma_f64 v[2:3], v[2:3], v[25:26], v[27:28]
	v_fma_f64 v[25:26], v[35:36], v[39:40], -v[33:34]
	v_fma_f64 v[27:28], v[37:38], v[39:40], v[41:42]
	v_add_f64_e32 v[5:6], v[5:6], v[29:30]
	v_add_f64_e32 v[12:13], v[12:13], v[31:32]
	s_delay_alu instid0(VALU_DEP_2) | instskip(NEXT) | instid1(VALU_DEP_2)
	v_add_f64_e32 v[0:1], v[5:6], v[0:1]
	v_add_f64_e32 v[2:3], v[12:13], v[2:3]
	s_delay_alu instid0(VALU_DEP_2) | instskip(NEXT) | instid1(VALU_DEP_2)
	v_add_f64_e32 v[0:1], v[0:1], v[25:26]
	v_add_f64_e32 v[2:3], v[2:3], v[27:28]
	s_cbranch_scc0 .LBB55_16
; %bb.17:                               ;   in Loop: Header=BB55_10 Depth=3
	flat_load_b128 v[4:7], v[10:11]
	v_mul_f64_e32 v[12:13], s[6:7], v[2:3]
	v_mul_f64_e32 v[25:26], s[6:7], v[0:1]
	s_delay_alu instid0(VALU_DEP_2) | instskip(NEXT) | instid1(VALU_DEP_2)
	v_fma_f64 v[0:1], s[4:5], v[0:1], -v[12:13]
	v_fma_f64 v[2:3], s[4:5], v[2:3], v[25:26]
	s_wait_loadcnt_dscnt 0x0
	s_delay_alu instid0(VALU_DEP_2) | instskip(NEXT) | instid1(VALU_DEP_2)
	v_add_f64_e32 v[0:1], v[0:1], v[4:5]
	v_add_f64_e32 v[2:3], v[2:3], v[6:7]
	flat_store_b128 v[10:11], v[0:3]
	s_branch .LBB55_9
.LBB55_18:
	s_endpgm
	.section	.rodata,"a",@progbits
	.p2align	6, 0x0
	.amdhsa_kernel _ZL24rocblas_symm_hemm_kernelILb0ELb1ELi32E19rocblas_complex_numIdEPKPKS1_PKPS1_EvbiiT2_T3_lllSA_lllT4_llli
		.amdhsa_group_segment_fixed_size 32768
		.amdhsa_private_segment_fixed_size 0
		.amdhsa_kernarg_size 392
		.amdhsa_user_sgpr_count 2
		.amdhsa_user_sgpr_dispatch_ptr 0
		.amdhsa_user_sgpr_queue_ptr 0
		.amdhsa_user_sgpr_kernarg_segment_ptr 1
		.amdhsa_user_sgpr_dispatch_id 0
		.amdhsa_user_sgpr_private_segment_size 0
		.amdhsa_wavefront_size32 1
		.amdhsa_uses_dynamic_stack 0
		.amdhsa_enable_private_segment 0
		.amdhsa_system_sgpr_workgroup_id_x 1
		.amdhsa_system_sgpr_workgroup_id_y 1
		.amdhsa_system_sgpr_workgroup_id_z 1
		.amdhsa_system_sgpr_workgroup_info 0
		.amdhsa_system_vgpr_workitem_id 1
		.amdhsa_next_free_vgpr 53
		.amdhsa_next_free_sgpr 44
		.amdhsa_reserve_vcc 1
		.amdhsa_float_round_mode_32 0
		.amdhsa_float_round_mode_16_64 0
		.amdhsa_float_denorm_mode_32 3
		.amdhsa_float_denorm_mode_16_64 3
		.amdhsa_fp16_overflow 0
		.amdhsa_workgroup_processor_mode 1
		.amdhsa_memory_ordered 1
		.amdhsa_forward_progress 1
		.amdhsa_inst_pref_size 13
		.amdhsa_round_robin_scheduling 0
		.amdhsa_exception_fp_ieee_invalid_op 0
		.amdhsa_exception_fp_denorm_src 0
		.amdhsa_exception_fp_ieee_div_zero 0
		.amdhsa_exception_fp_ieee_overflow 0
		.amdhsa_exception_fp_ieee_underflow 0
		.amdhsa_exception_fp_ieee_inexact 0
		.amdhsa_exception_int_div_zero 0
	.end_amdhsa_kernel
	.section	.text._ZL24rocblas_symm_hemm_kernelILb0ELb1ELi32E19rocblas_complex_numIdEPKPKS1_PKPS1_EvbiiT2_T3_lllSA_lllT4_llli,"axG",@progbits,_ZL24rocblas_symm_hemm_kernelILb0ELb1ELi32E19rocblas_complex_numIdEPKPKS1_PKPS1_EvbiiT2_T3_lllSA_lllT4_llli,comdat
.Lfunc_end55:
	.size	_ZL24rocblas_symm_hemm_kernelILb0ELb1ELi32E19rocblas_complex_numIdEPKPKS1_PKPS1_EvbiiT2_T3_lllSA_lllT4_llli, .Lfunc_end55-_ZL24rocblas_symm_hemm_kernelILb0ELb1ELi32E19rocblas_complex_numIdEPKPKS1_PKPS1_EvbiiT2_T3_lllSA_lllT4_llli
                                        ; -- End function
	.set _ZL24rocblas_symm_hemm_kernelILb0ELb1ELi32E19rocblas_complex_numIdEPKPKS1_PKPS1_EvbiiT2_T3_lllSA_lllT4_llli.num_vgpr, 53
	.set _ZL24rocblas_symm_hemm_kernelILb0ELb1ELi32E19rocblas_complex_numIdEPKPKS1_PKPS1_EvbiiT2_T3_lllSA_lllT4_llli.num_agpr, 0
	.set _ZL24rocblas_symm_hemm_kernelILb0ELb1ELi32E19rocblas_complex_numIdEPKPKS1_PKPS1_EvbiiT2_T3_lllSA_lllT4_llli.numbered_sgpr, 44
	.set _ZL24rocblas_symm_hemm_kernelILb0ELb1ELi32E19rocblas_complex_numIdEPKPKS1_PKPS1_EvbiiT2_T3_lllSA_lllT4_llli.num_named_barrier, 0
	.set _ZL24rocblas_symm_hemm_kernelILb0ELb1ELi32E19rocblas_complex_numIdEPKPKS1_PKPS1_EvbiiT2_T3_lllSA_lllT4_llli.private_seg_size, 0
	.set _ZL24rocblas_symm_hemm_kernelILb0ELb1ELi32E19rocblas_complex_numIdEPKPKS1_PKPS1_EvbiiT2_T3_lllSA_lllT4_llli.uses_vcc, 1
	.set _ZL24rocblas_symm_hemm_kernelILb0ELb1ELi32E19rocblas_complex_numIdEPKPKS1_PKPS1_EvbiiT2_T3_lllSA_lllT4_llli.uses_flat_scratch, 0
	.set _ZL24rocblas_symm_hemm_kernelILb0ELb1ELi32E19rocblas_complex_numIdEPKPKS1_PKPS1_EvbiiT2_T3_lllSA_lllT4_llli.has_dyn_sized_stack, 0
	.set _ZL24rocblas_symm_hemm_kernelILb0ELb1ELi32E19rocblas_complex_numIdEPKPKS1_PKPS1_EvbiiT2_T3_lllSA_lllT4_llli.has_recursion, 0
	.set _ZL24rocblas_symm_hemm_kernelILb0ELb1ELi32E19rocblas_complex_numIdEPKPKS1_PKPS1_EvbiiT2_T3_lllSA_lllT4_llli.has_indirect_call, 0
	.section	.AMDGPU.csdata,"",@progbits
; Kernel info:
; codeLenInByte = 1584
; TotalNumSgprs: 46
; NumVgprs: 53
; ScratchSize: 0
; MemoryBound: 1
; FloatMode: 240
; IeeeMode: 1
; LDSByteSize: 32768 bytes/workgroup (compile time only)
; SGPRBlocks: 0
; VGPRBlocks: 6
; NumSGPRsForWavesPerEU: 46
; NumVGPRsForWavesPerEU: 53
; Occupancy: 16
; WaveLimiterHint : 1
; COMPUTE_PGM_RSRC2:SCRATCH_EN: 0
; COMPUTE_PGM_RSRC2:USER_SGPR: 2
; COMPUTE_PGM_RSRC2:TRAP_HANDLER: 0
; COMPUTE_PGM_RSRC2:TGID_X_EN: 1
; COMPUTE_PGM_RSRC2:TGID_Y_EN: 1
; COMPUTE_PGM_RSRC2:TGID_Z_EN: 1
; COMPUTE_PGM_RSRC2:TIDIG_COMP_CNT: 1
	.section	.text._ZL24rocblas_symm_hemm_kernelILb1ELb0ELi32EPK19rocblas_complex_numIfEPKS3_PKPS1_EvbiiT2_T3_lllSA_lllT4_llli,"axG",@progbits,_ZL24rocblas_symm_hemm_kernelILb1ELb0ELi32EPK19rocblas_complex_numIfEPKS3_PKPS1_EvbiiT2_T3_lllSA_lllT4_llli,comdat
	.globl	_ZL24rocblas_symm_hemm_kernelILb1ELb0ELi32EPK19rocblas_complex_numIfEPKS3_PKPS1_EvbiiT2_T3_lllSA_lllT4_llli ; -- Begin function _ZL24rocblas_symm_hemm_kernelILb1ELb0ELi32EPK19rocblas_complex_numIfEPKS3_PKPS1_EvbiiT2_T3_lllSA_lllT4_llli
	.p2align	8
	.type	_ZL24rocblas_symm_hemm_kernelILb1ELb0ELi32EPK19rocblas_complex_numIfEPKS3_PKPS1_EvbiiT2_T3_lllSA_lllT4_llli,@function
_ZL24rocblas_symm_hemm_kernelILb1ELb0ELi32EPK19rocblas_complex_numIfEPKS3_PKPS1_EvbiiT2_T3_lllSA_lllT4_llli: ; @_ZL24rocblas_symm_hemm_kernelILb1ELb0ELi32EPK19rocblas_complex_numIfEPKS3_PKPS1_EvbiiT2_T3_lllSA_lllT4_llli
; %bb.0:
	s_load_b256 s[4:11], s[0:1], 0x10
	s_wait_kmcnt 0x0
	s_load_b64 s[4:5], s[4:5], 0x0
	s_wait_kmcnt 0x0
	s_cmp_eq_f32 s4, 0
	s_cselect_b32 s2, -1, 0
	s_cmp_eq_f32 s5, 0
	s_cselect_b32 s3, -1, 0
	s_delay_alu instid0(SALU_CYCLE_1) | instskip(NEXT) | instid1(SALU_CYCLE_1)
	s_and_b32 s2, s2, s3
	s_and_b32 vcc_lo, exec_lo, s2
	s_cbranch_vccnz .LBB56_24
; %bb.1:
	s_load_b32 s23, s[0:1], 0x78
	s_lshr_b32 s24, ttmp7, 16
	s_wait_kmcnt 0x0
	s_cmp_ge_u32 s24, s23
	s_cbranch_scc1 .LBB56_24
; %bb.2:
	s_clause 0x2
	s_load_b96 s[20:22], s[0:1], 0x0
	s_load_b128 s[12:15], s[0:1], 0x38
	s_load_b64 s[26:27], s[0:1], 0x68
	v_and_b32_e32 v15, 0x3ff, v0
	v_bfe_u32 v16, v0, 10, 10
	v_mov_b32_e32 v17, 0
	s_clause 0x1
	s_load_b64 s[28:29], s[0:1], 0x48
	s_load_b128 s[16:19], s[0:1], 0x58
	s_add_nc_u64 s[30:31], s[0:1], 0x80
	v_lshl_add_u32 v0, ttmp9, 5, v15
	v_lshlrev_b32_e32 v18, 8, v15
	v_lshlrev_b32_e32 v2, 3, v16
	s_mov_b32 s25, 0
	s_delay_alu instid0(VALU_DEP_3)
	v_ashrrev_i32_e32 v1, 31, v0
	v_mul_lo_u32 v5, s11, v0
	v_mad_co_u64_u32 v[3:4], null, s10, v0, 0
	v_or_b32_e32 v19, 0x2000, v2
	v_add_nc_u32_e32 v20, v18, v2
	v_mul_lo_u32 v2, s10, v1
	s_wait_kmcnt 0x0
	s_bitcmp1_b32 s20, 0
	v_add_nc_u32_e32 v21, v19, v18
	s_cselect_b32 s0, -1, 0
	s_add_co_i32 s1, s22, -1
	s_wait_alu 0xfffe
	s_and_b32 s20, ttmp7, 0xffff
	s_ashr_i32 s2, s1, 31
	v_add3_u32 v4, v4, v2, v5
	s_lshr_b32 s2, s2, 27
	v_lshlrev_b64_e32 v[1:2], 3, v[0:1]
	s_add_co_i32 s1, s1, s2
	v_add_nc_u32_e32 v22, 0x800, v19
	s_wait_alu 0xfffe
	s_ashr_i32 s33, s1, 5
	v_lshlrev_b64_e32 v[3:4], 3, v[3:4]
	s_cmp_le_i32 s20, s33
	v_cmp_gt_i32_e64 s1, s21, v0
	v_add_nc_u32_e32 v23, 0x1000, v19
	v_add_nc_u32_e32 v24, 0x1800, v19
	s_cselect_b32 s34, -1, 0
	s_cmp_gt_i32 s21, 0
	s_cselect_b32 s35, -1, 0
	s_lshl_b64 s[14:15], s[14:15], 3
	s_lshl_b64 s[18:19], s[18:19], 3
	s_lshl_b64 s[8:9], s[8:9], 3
	s_branch .LBB56_4
.LBB56_3:                               ;   in Loop: Header=BB56_4 Depth=1
	s_add_co_i32 s24, s24, 0x10000
	s_delay_alu instid0(SALU_CYCLE_1)
	s_cmp_lt_u32 s24, s23
	s_cbranch_scc0 .LBB56_24
.LBB56_4:                               ; =>This Loop Header: Depth=1
                                        ;     Child Loop BB56_7 Depth 2
                                        ;       Child Loop BB56_10 Depth 3
	s_and_not1_b32 vcc_lo, exec_lo, s34
	s_wait_alu 0xfffe
	s_cbranch_vccnz .LBB56_3
; %bb.5:                                ;   in Loop: Header=BB56_4 Depth=1
	s_lshl_b64 s[2:3], s[24:25], 3
	s_wait_alu 0xfffe
	s_add_nc_u64 s[36:37], s[12:13], s[2:3]
	global_load_b64 v[5:6], v17, s[36:37]
	s_add_nc_u64 s[36:37], s[6:7], s[2:3]
	s_add_nc_u64 s[2:3], s[16:17], s[2:3]
	s_clause 0x1
	global_load_b64 v[7:8], v17, s[36:37]
	global_load_b64 v[9:10], v17, s[2:3]
	s_load_b32 s36, s[30:31], 0x4
	s_mov_b32 s37, s20
	s_wait_loadcnt 0x2
	v_add_co_u32 v25, vcc_lo, v5, s14
	s_wait_alu 0xfffd
	v_add_co_ci_u32_e64 v26, null, s15, v6, vcc_lo
	s_wait_loadcnt 0x1
	v_add_co_u32 v5, vcc_lo, v7, s8
	s_wait_alu 0xfffd
	v_add_co_ci_u32_e64 v6, null, s9, v8, vcc_lo
	;; [unrolled: 4-line block ×3, first 2 shown]
	v_add_co_u32 v27, vcc_lo, v5, v1
	s_wait_alu 0xfffd
	v_add_co_ci_u32_e64 v28, null, v6, v2, vcc_lo
	v_add_co_u32 v29, vcc_lo, v5, v3
	s_wait_alu 0xfffd
	v_add_co_ci_u32_e64 v30, null, v6, v4, vcc_lo
	;; [unrolled: 3-line block ×4, first 2 shown]
	s_branch .LBB56_7
.LBB56_6:                               ;   in Loop: Header=BB56_7 Depth=2
	s_wait_kmcnt 0x0
	s_add_co_i32 s37, s37, s36
	s_wait_alu 0xfffe
	s_cmp_gt_i32 s37, s33
	s_cbranch_scc1 .LBB56_3
.LBB56_7:                               ;   Parent Loop BB56_4 Depth=1
                                        ; =>  This Loop Header: Depth=2
                                        ;       Child Loop BB56_10 Depth 3
	s_and_not1_b32 vcc_lo, exec_lo, s35
	s_wait_alu 0xfffe
	s_cbranch_vccnz .LBB56_6
; %bb.8:                                ;   in Loop: Header=BB56_7 Depth=2
	v_lshl_add_u32 v11, s37, 5, v16
	s_mov_b32 s39, 0
	s_delay_alu instid0(VALU_DEP_1) | instskip(SKIP_3) | instid1(VALU_DEP_4)
	v_ashrrev_i32_e32 v12, 31, v11
	v_mul_lo_u32 v13, s29, v11
	v_mad_co_u64_u32 v[7:8], null, s28, v11, 0
	v_mul_lo_u32 v33, s27, v11
	v_mul_lo_u32 v14, s28, v12
	v_mad_co_u64_u32 v[9:10], null, s26, v11, 0
	v_mul_lo_u32 v12, s26, v12
	v_cmp_gt_i32_e32 vcc_lo, s22, v11
	s_delay_alu instid0(VALU_DEP_4) | instskip(SKIP_1) | instid1(VALU_DEP_3)
	v_add3_u32 v8, v8, v14, v13
	s_and_b32 s38, s1, vcc_lo
	v_add3_u32 v10, v10, v12, v33
	s_delay_alu instid0(VALU_DEP_2) | instskip(NEXT) | instid1(VALU_DEP_2)
	v_lshlrev_b64_e32 v[7:8], 3, v[7:8]
	v_lshlrev_b64_e32 v[9:10], 3, v[9:10]
	s_delay_alu instid0(VALU_DEP_2) | instskip(SKIP_1) | instid1(VALU_DEP_3)
	v_add_co_u32 v33, s2, v25, v7
	s_wait_alu 0xf1ff
	v_add_co_ci_u32_e64 v34, null, v26, v8, s2
	s_delay_alu instid0(VALU_DEP_3)
	v_add_co_u32 v7, s2, v31, v9
	s_wait_alu 0xf1ff
	v_add_co_ci_u32_e64 v8, null, v32, v10, s2
	s_branch .LBB56_10
.LBB56_9:                               ;   in Loop: Header=BB56_10 Depth=3
	s_wait_alu 0xfffe
	s_or_b32 exec_lo, exec_lo, s2
	s_add_co_i32 s39, s39, 32
	s_wait_storecnt 0x0
	s_wait_loadcnt_dscnt 0x0
	s_wait_alu 0xfffe
	s_cmp_ge_i32 s39, s21
	s_barrier_signal -1
	s_barrier_wait -1
	global_inv scope:SCOPE_SE
	s_cbranch_scc1 .LBB56_6
.LBB56_10:                              ;   Parent Loop BB56_4 Depth=1
                                        ;     Parent Loop BB56_7 Depth=2
                                        ; =>    This Inner Loop Header: Depth=3
	s_wait_alu 0xfffe
	v_add_nc_u32_e32 v10, s39, v16
	s_mov_b32 s40, exec_lo
	s_delay_alu instid0(VALU_DEP_1) | instskip(SKIP_1) | instid1(VALU_DEP_1)
	v_cndmask_b32_e64 v12, v10, v0, s0
	v_cndmask_b32_e64 v13, v0, v10, s0
	v_cmp_gt_i32_e64 s2, v12, v13
	s_wait_alu 0xf1ff
	s_delay_alu instid0(VALU_DEP_1) | instskip(SKIP_3) | instid1(VALU_DEP_3)
	v_cndmask_b32_e64 v9, v0, v10, s2
	v_cndmask_b32_e64 v11, v10, v0, s2
	v_cmp_le_i32_e64 s2, v12, v13
	v_mov_b32_e32 v12, 0
	v_max_i32_e32 v14, v9, v11
	v_mov_b32_e32 v9, 0
	v_mov_b32_e32 v11, 0
	s_delay_alu instid0(VALU_DEP_3)
	v_cmpx_gt_i32_e64 s21, v14
	s_cbranch_execz .LBB56_20
; %bb.11:                               ;   in Loop: Header=BB56_10 Depth=3
                                        ; implicit-def: $vgpr12
	s_and_saveexec_b32 s3, s2
	s_wait_alu 0xfffe
	s_xor_b32 s3, exec_lo, s3
	s_cbranch_execz .LBB56_17
; %bb.12:                               ;   in Loop: Header=BB56_10 Depth=3
	s_mov_b32 s41, exec_lo
                                        ; implicit-def: $vgpr12
	v_cmpx_ne_u32_e64 v10, v0
	s_xor_b32 s41, exec_lo, s41
	s_cbranch_execz .LBB56_14
; %bb.13:                               ;   in Loop: Header=BB56_10 Depth=3
	v_ashrrev_i32_e32 v12, 31, v10
	v_mul_lo_u32 v13, s11, v10
	v_mad_co_u64_u32 v[10:11], null, s10, v10, 0
	s_delay_alu instid0(VALU_DEP_3) | instskip(NEXT) | instid1(VALU_DEP_1)
	v_mul_lo_u32 v12, s10, v12
	v_add3_u32 v11, v11, v12, v13
	s_delay_alu instid0(VALU_DEP_1) | instskip(NEXT) | instid1(VALU_DEP_1)
	v_lshlrev_b64_e32 v[10:11], 3, v[10:11]
	v_add_co_u32 v10, s2, v27, v10
	s_wait_alu 0xf1ff
	s_delay_alu instid0(VALU_DEP_2)
	v_add_co_ci_u32_e64 v11, null, v28, v11, s2
	flat_load_b64 v[11:12], v[10:11]
.LBB56_14:                              ;   in Loop: Header=BB56_10 Depth=3
	s_and_not1_saveexec_b32 s2, s41
	s_cbranch_execz .LBB56_16
; %bb.15:                               ;   in Loop: Header=BB56_10 Depth=3
	s_wait_loadcnt_dscnt 0x0
	flat_load_b32 v11, v[5:6]
	v_mov_b32_e32 v12, 0
.LBB56_16:                              ;   in Loop: Header=BB56_10 Depth=3
	s_wait_alu 0xfffe
	s_or_b32 exec_lo, exec_lo, s2
                                        ; implicit-def: $vgpr10
.LBB56_17:                              ;   in Loop: Header=BB56_10 Depth=3
	s_wait_alu 0xfffe
	s_and_not1_saveexec_b32 s3, s3
	s_cbranch_execz .LBB56_19
; %bb.18:                               ;   in Loop: Header=BB56_10 Depth=3
	s_wait_loadcnt_dscnt 0x0
	v_ashrrev_i32_e32 v11, 31, v10
	s_delay_alu instid0(VALU_DEP_1) | instskip(NEXT) | instid1(VALU_DEP_1)
	v_lshlrev_b64_e32 v[10:11], 3, v[10:11]
	v_add_co_u32 v10, s2, v29, v10
	s_wait_alu 0xf1ff
	s_delay_alu instid0(VALU_DEP_2)
	v_add_co_ci_u32_e64 v11, null, v30, v11, s2
	flat_load_b64 v[11:12], v[10:11]
	s_wait_loadcnt_dscnt 0x0
	v_xor_b32_e32 v12, 0x80000000, v12
.LBB56_19:                              ;   in Loop: Header=BB56_10 Depth=3
	s_wait_alu 0xfffe
	s_or_b32 exec_lo, exec_lo, s3
.LBB56_20:                              ;   in Loop: Header=BB56_10 Depth=3
	s_delay_alu instid0(SALU_CYCLE_1)
	s_or_b32 exec_lo, exec_lo, s40
	v_dual_mov_b32 v10, 0 :: v_dual_add_nc_u32 v13, s39, v15
	s_wait_loadcnt_dscnt 0x0
	ds_store_b64 v20, v[11:12]
	v_cmp_gt_i32_e64 s2, s21, v13
	s_and_b32 s2, s2, vcc_lo
	s_wait_alu 0xfffe
	s_and_saveexec_b32 s3, s2
	s_cbranch_execz .LBB56_22
; %bb.21:                               ;   in Loop: Header=BB56_10 Depth=3
	v_ashrrev_i32_e32 v14, 31, v13
	s_delay_alu instid0(VALU_DEP_1) | instskip(NEXT) | instid1(VALU_DEP_1)
	v_lshlrev_b64_e32 v[9:10], 3, v[13:14]
	v_add_co_u32 v9, s2, v33, v9
	s_wait_alu 0xf1ff
	s_delay_alu instid0(VALU_DEP_2)
	v_add_co_ci_u32_e64 v10, null, v34, v10, s2
	flat_load_b64 v[9:10], v[9:10]
.LBB56_22:                              ;   in Loop: Header=BB56_10 Depth=3
	s_wait_alu 0xfffe
	s_or_b32 exec_lo, exec_lo, s3
	s_wait_loadcnt_dscnt 0x0
	ds_store_b64 v21, v[9:10]
	s_wait_dscnt 0x0
	s_barrier_signal -1
	s_barrier_wait -1
	global_inv scope:SCOPE_SE
	s_and_saveexec_b32 s2, s38
	s_cbranch_execz .LBB56_9
; %bb.23:                               ;   in Loop: Header=BB56_10 Depth=3
	flat_load_b64 v[9:10], v[7:8]
	ds_load_2addr_b64 v[11:14], v19 offset1:32
	ds_load_b128 v[35:38], v18
	ds_load_b128 v[39:42], v18 offset:16
	ds_load_b128 v[43:46], v18 offset:32
	;; [unrolled: 1-line block ×3, first 2 shown]
	ds_load_2addr_b64 v[51:54], v19 offset0:64 offset1:96
	ds_load_2addr_b64 v[55:58], v19 offset0:128 offset1:160
	;; [unrolled: 1-line block ×3, first 2 shown]
	ds_load_2addr_b64 v[63:66], v22 offset1:32
	ds_load_b128 v[67:70], v18 offset:64
	ds_load_b128 v[71:74], v18 offset:80
	ds_load_2addr_b64 v[75:78], v22 offset0:64 offset1:96
	ds_load_2addr_b64 v[79:82], v22 offset0:128 offset1:160
	ds_load_b128 v[83:86], v18 offset:96
	ds_load_b128 v[87:90], v18 offset:112
	ds_load_2addr_b64 v[91:94], v22 offset0:192 offset1:224
	ds_load_2addr_b64 v[95:98], v23 offset1:32
	ds_load_b128 v[99:102], v18 offset:128
	ds_load_b128 v[103:106], v18 offset:144
	ds_load_2addr_b64 v[107:110], v23 offset0:64 offset1:96
	ds_load_2addr_b64 v[111:114], v23 offset0:128 offset1:160
	ds_load_b128 v[115:118], v18 offset:160
	ds_load_b128 v[119:122], v18 offset:176
	ds_load_2addr_b64 v[123:126], v23 offset0:192 offset1:224
	ds_load_2addr_b64 v[127:130], v24 offset1:32
	s_wait_dscnt 0x17
	v_dual_mul_f32 v132, v11, v36 :: v_dual_mul_f32 v133, v13, v38
	v_dual_mul_f32 v131, v12, v36 :: v_dual_mul_f32 v36, v14, v38
	s_wait_dscnt 0x13
	v_mul_f32_e32 v38, v52, v40
	s_wait_dscnt 0x12
	v_dual_fmac_f32 v132, v12, v35 :: v_dual_mul_f32 v137, v55, v44
	v_mul_f32_e32 v134, v51, v40
	v_mul_f32_e32 v40, v54, v42
	s_wait_dscnt 0x11
	v_dual_mul_f32 v136, v53, v42 :: v_dual_mul_f32 v143, v59, v48
	v_mul_f32_e32 v42, v56, v44
	v_mul_f32_e32 v44, v58, v46
	v_fmac_f32_e32 v133, v14, v37
	v_fma_f32 v139, v51, v39, -v38
	v_dual_fmac_f32 v143, v60, v47 :: v_dual_mul_f32 v138, v57, v46
	s_delay_alu instid0(VALU_DEP_4)
	v_fma_f32 v142, v57, v45, -v44
	v_mul_f32_e32 v44, v62, v50
	v_fma_f32 v141, v55, v43, -v42
	v_fmac_f32_e32 v137, v56, v43
	v_dual_mul_f32 v43, v60, v48 :: v_dual_mul_f32 v144, v61, v50
	s_wait_dscnt 0xf
	v_mul_f32_e32 v48, v64, v68
	v_fma_f32 v60, v61, v49, -v44
	v_mul_f32_e32 v61, v63, v68
	v_fma_f32 v131, v11, v35, -v131
	v_fma_f32 v140, v53, v41, -v40
	v_fmac_f32_e32 v136, v54, v41
	v_fma_f32 v59, v59, v47, -v43
	v_mul_f32_e32 v47, v66, v70
	v_fma_f32 v63, v63, v67, -v48
	v_fmac_f32_e32 v61, v64, v67
	s_wait_dscnt 0xd
	v_dual_mul_f32 v67, v76, v72 :: v_dual_fmac_f32 v144, v62, v49
	v_mul_f32_e32 v62, v65, v70
	v_mul_f32_e32 v68, v75, v72
	v_fma_f32 v135, v13, v37, -v36
	v_add_f32_e32 v48, 0, v131
	v_fma_f32 v64, v65, v69, -v47
	v_mul_f32_e32 v70, v77, v74
	v_fma_f32 v67, v75, v71, -v67
	s_wait_dscnt 0xb
	v_dual_fmac_f32 v68, v76, v71 :: v_dual_mul_f32 v71, v79, v84
	s_wait_dscnt 0x9
	v_dual_fmac_f32 v62, v66, v69 :: v_dual_mul_f32 v75, v92, v88
	v_mul_f32_e32 v69, v78, v74
	v_fmac_f32_e32 v70, v78, v73
	v_dual_fmac_f32 v134, v52, v39 :: v_dual_add_f32 v49, 0, v132
	ds_load_b128 v[11:14], v18 offset:192
	ds_load_b128 v[35:38], v18 offset:208
	v_fma_f32 v69, v77, v73, -v69
	v_mul_f32_e32 v73, v82, v86
	v_dual_fmac_f32 v138, v58, v45 :: v_dual_add_f32 v65, v48, v135
	v_dual_add_f32 v66, v49, v133 :: v_dual_mul_f32 v77, v94, v90
	ds_load_2addr_b64 v[39:42], v24 offset0:64 offset1:96
	ds_load_2addr_b64 v[43:46], v24 offset0:128 offset1:160
	v_add_f32_e32 v65, v65, v139
	ds_load_b128 v[47:50], v18 offset:224
	ds_load_b128 v[51:54], v18 offset:240
	ds_load_2addr_b64 v[55:58], v24 offset0:192 offset1:224
	v_fmac_f32_e32 v71, v80, v83
	v_dual_add_f32 v65, v65, v140 :: v_dual_add_f32 v66, v66, v134
	s_delay_alu instid0(VALU_DEP_1) | instskip(NEXT) | instid1(VALU_DEP_1)
	v_add_f32_e32 v65, v65, v141
	v_dual_add_f32 v65, v65, v142 :: v_dual_add_f32 v66, v66, v136
	s_delay_alu instid0(VALU_DEP_1) | instskip(SKIP_2) | instid1(VALU_DEP_2)
	v_dual_add_f32 v59, v65, v59 :: v_dual_add_f32 v66, v66, v137
	s_wait_dscnt 0xe
	v_mul_f32_e32 v65, v95, v100
	v_add_f32_e32 v59, v59, v60
	s_wait_dscnt 0xc
	v_mul_f32_e32 v60, v108, v104
	s_delay_alu instid0(VALU_DEP_3) | instskip(NEXT) | instid1(VALU_DEP_3)
	v_fmac_f32_e32 v65, v96, v99
	v_add_f32_e32 v59, v59, v63
	v_mul_f32_e32 v63, v109, v106
	v_add_f32_e32 v66, v66, v138
	v_mul_f32_e32 v74, v81, v86
	s_delay_alu instid0(VALU_DEP_4) | instskip(SKIP_1) | instid1(VALU_DEP_4)
	v_dual_mul_f32 v86, v98, v102 :: v_dual_add_f32 v59, v59, v64
	v_mul_f32_e32 v78, v93, v90
	v_add_f32_e32 v66, v66, v143
	v_fmac_f32_e32 v63, v110, v105
	s_delay_alu instid0(VALU_DEP_4) | instskip(SKIP_3) | instid1(VALU_DEP_3)
	v_add_f32_e32 v59, v59, v67
	s_wait_dscnt 0x8
	v_mul_f32_e32 v67, v123, v120
	v_add_f32_e32 v66, v66, v144
	v_dual_mul_f32 v72, v80, v84 :: v_dual_add_f32 v59, v59, v69
	v_mul_f32_e32 v69, v126, v122
	s_delay_alu instid0(VALU_DEP_3) | instskip(SKIP_3) | instid1(VALU_DEP_4)
	v_dual_add_f32 v61, v66, v61 :: v_dual_mul_f32 v76, v91, v88
	v_mul_f32_e32 v88, v97, v102
	v_mul_f32_e32 v102, v111, v116
	v_fma_f32 v60, v107, v103, -v60
	v_dual_add_f32 v61, v61, v62 :: v_dual_fmac_f32 v76, v92, v87
	v_fmac_f32_e32 v67, v124, v119
	s_delay_alu instid0(VALU_DEP_2)
	v_add_f32_e32 v61, v61, v68
	v_fma_f32 v68, v79, v83, -v72
	v_mul_f32_e32 v84, v96, v100
	v_mul_f32_e32 v100, v110, v106
	v_fma_f32 v72, v93, v89, -v77
	v_add_f32_e32 v61, v61, v70
	v_fma_f32 v70, v81, v85, -v73
	v_add_f32_e32 v59, v59, v68
	v_mul_f32_e32 v66, v112, v116
	v_fma_f32 v73, v97, v101, -v86
	v_add_f32_e32 v61, v61, v71
	v_fma_f32 v71, v91, v87, -v75
	v_add_f32_e32 v59, v59, v70
	s_delay_alu instid0(VALU_DEP_1) | instskip(SKIP_2) | instid1(VALU_DEP_3)
	v_dual_mul_f32 v64, v113, v118 :: v_dual_add_f32 v59, v59, v71
	v_fmac_f32_e32 v74, v82, v85
	v_fma_f32 v71, v95, v99, -v84
	v_dual_fmac_f32 v64, v114, v117 :: v_dual_add_f32 v59, v59, v72
	s_delay_alu instid0(VALU_DEP_3) | instskip(SKIP_1) | instid1(VALU_DEP_3)
	v_dual_mul_f32 v90, v107, v104 :: v_dual_add_f32 v61, v61, v74
	v_mul_f32_e32 v62, v114, v118
	v_dual_mul_f32 v68, v125, v122 :: v_dual_add_f32 v59, v59, v71
	s_delay_alu instid0(VALU_DEP_3)
	v_dual_fmac_f32 v90, v108, v103 :: v_dual_add_f32 v61, v61, v76
	v_fmac_f32_e32 v88, v98, v101
	v_fmac_f32_e32 v78, v94, v89
	v_mul_f32_e32 v104, v124, v120
	s_wait_dscnt 0x6
	v_dual_mul_f32 v70, v128, v12 :: v_dual_add_f32 v59, v59, v73
	s_delay_alu instid0(VALU_DEP_3) | instskip(SKIP_1) | instid1(VALU_DEP_3)
	v_dual_mul_f32 v12, v127, v12 :: v_dual_add_f32 v61, v61, v78
	v_mul_f32_e32 v72, v130, v14
	v_dual_mul_f32 v14, v129, v14 :: v_dual_add_f32 v59, v59, v60
	v_fma_f32 v71, v109, v105, -v100
	s_delay_alu instid0(VALU_DEP_4)
	v_add_f32_e32 v61, v61, v65
	s_wait_dscnt 0x4
	v_mul_f32_e32 v65, v40, v36
	v_fma_f32 v60, v111, v115, -v66
	v_fma_f32 v62, v113, v117, -v62
	v_add_f32_e32 v59, v59, v71
	v_dual_add_f32 v61, v61, v88 :: v_dual_fmac_f32 v102, v112, v115
	v_fmac_f32_e32 v68, v126, v121
	s_delay_alu instid0(VALU_DEP_3) | instskip(NEXT) | instid1(VALU_DEP_3)
	v_dual_fmac_f32 v12, v128, v11 :: v_dual_add_f32 v59, v59, v60
	v_dual_add_f32 v61, v61, v90 :: v_dual_mul_f32 v36, v39, v36
	v_fma_f32 v60, v123, v119, -v104
	s_delay_alu instid0(VALU_DEP_3) | instskip(NEXT) | instid1(VALU_DEP_3)
	v_dual_fmac_f32 v14, v130, v13 :: v_dual_add_f32 v59, v59, v62
	v_add_f32_e32 v61, v61, v63
	v_mul_f32_e32 v63, v42, v38
	v_mul_f32_e32 v38, v41, v38
	s_wait_dscnt 0x2
	v_mul_f32_e32 v62, v44, v48
	v_add_f32_e32 v59, v59, v60
	v_dual_add_f32 v61, v61, v102 :: v_dual_mul_f32 v48, v43, v48
	v_fma_f32 v60, v127, v11, -v70
	v_fma_f32 v39, v39, v35, -v65
	s_delay_alu instid0(VALU_DEP_3)
	v_dual_fmac_f32 v36, v40, v35 :: v_dual_add_f32 v61, v61, v64
	v_fma_f32 v64, v125, v121, -v69
	v_fmac_f32_e32 v38, v42, v37
	v_fma_f32 v35, v41, v37, -v63
	v_fma_f32 v37, v43, v47, -v62
	v_add_f32_e32 v61, v61, v67
	v_add_f32_e32 v59, v59, v64
	v_fma_f32 v64, v129, v13, -v72
	s_delay_alu instid0(VALU_DEP_3) | instskip(SKIP_1) | instid1(VALU_DEP_2)
	v_dual_fmac_f32 v48, v44, v47 :: v_dual_add_f32 v11, v61, v68
	v_mul_f32_e32 v61, v46, v50
	v_add_f32_e32 v11, v11, v12
	v_dual_add_f32 v12, v59, v60 :: v_dual_mul_f32 v13, v45, v50
	s_delay_alu instid0(VALU_DEP_1) | instskip(NEXT) | instid1(VALU_DEP_1)
	v_add_f32_e32 v12, v12, v64
	v_dual_add_f32 v12, v12, v39 :: v_dual_add_f32 v11, v11, v14
	s_wait_dscnt 0x0
	v_mul_f32_e32 v14, v56, v52
	s_delay_alu instid0(VALU_DEP_2) | instskip(SKIP_2) | instid1(VALU_DEP_3)
	v_dual_add_f32 v12, v12, v35 :: v_dual_add_f32 v11, v11, v36
	v_dual_mul_f32 v36, v55, v52 :: v_dual_mul_f32 v35, v58, v54
	v_fmac_f32_e32 v13, v46, v49
	v_dual_add_f32 v12, v12, v37 :: v_dual_add_f32 v11, v11, v38
	v_fma_f32 v38, v45, v49, -v61
	v_fma_f32 v14, v55, v51, -v14
	s_delay_alu instid0(VALU_DEP_3) | instskip(NEXT) | instid1(VALU_DEP_1)
	v_dual_fmac_f32 v36, v56, v51 :: v_dual_add_f32 v11, v11, v48
	v_dual_add_f32 v12, v12, v38 :: v_dual_add_f32 v11, v11, v13
	v_fma_f32 v13, v57, v53, -v35
	s_delay_alu instid0(VALU_DEP_2) | instskip(SKIP_1) | instid1(VALU_DEP_2)
	v_add_f32_e32 v12, v12, v14
	v_mul_f32_e32 v37, v57, v54
	v_dual_add_f32 v11, v11, v36 :: v_dual_add_f32 v12, v12, v13
	s_delay_alu instid0(VALU_DEP_1) | instskip(NEXT) | instid1(VALU_DEP_1)
	v_dual_fmac_f32 v37, v58, v53 :: v_dual_mul_f32 v14, s5, v12
	v_add_f32_e32 v11, v11, v37
	s_delay_alu instid0(VALU_DEP_1) | instskip(SKIP_1) | instid1(VALU_DEP_1)
	v_fmac_f32_e32 v14, s4, v11
	s_wait_loadcnt 0x0
	v_dual_add_f32 v10, v10, v14 :: v_dual_mul_f32 v13, s5, v11
	s_delay_alu instid0(VALU_DEP_1) | instskip(NEXT) | instid1(VALU_DEP_1)
	v_fma_f32 v12, s4, v12, -v13
	v_add_f32_e32 v9, v9, v12
	flat_store_b64 v[7:8], v[9:10]
	s_branch .LBB56_9
.LBB56_24:
	s_endpgm
	.section	.rodata,"a",@progbits
	.p2align	6, 0x0
	.amdhsa_kernel _ZL24rocblas_symm_hemm_kernelILb1ELb0ELi32EPK19rocblas_complex_numIfEPKS3_PKPS1_EvbiiT2_T3_lllSA_lllT4_llli
		.amdhsa_group_segment_fixed_size 16384
		.amdhsa_private_segment_fixed_size 0
		.amdhsa_kernarg_size 384
		.amdhsa_user_sgpr_count 2
		.amdhsa_user_sgpr_dispatch_ptr 0
		.amdhsa_user_sgpr_queue_ptr 0
		.amdhsa_user_sgpr_kernarg_segment_ptr 1
		.amdhsa_user_sgpr_dispatch_id 0
		.amdhsa_user_sgpr_private_segment_size 0
		.amdhsa_wavefront_size32 1
		.amdhsa_uses_dynamic_stack 0
		.amdhsa_enable_private_segment 0
		.amdhsa_system_sgpr_workgroup_id_x 1
		.amdhsa_system_sgpr_workgroup_id_y 1
		.amdhsa_system_sgpr_workgroup_id_z 1
		.amdhsa_system_sgpr_workgroup_info 0
		.amdhsa_system_vgpr_workitem_id 1
		.amdhsa_next_free_vgpr 145
		.amdhsa_next_free_sgpr 42
		.amdhsa_reserve_vcc 1
		.amdhsa_float_round_mode_32 0
		.amdhsa_float_round_mode_16_64 0
		.amdhsa_float_denorm_mode_32 3
		.amdhsa_float_denorm_mode_16_64 3
		.amdhsa_fp16_overflow 0
		.amdhsa_workgroup_processor_mode 1
		.amdhsa_memory_ordered 1
		.amdhsa_forward_progress 1
		.amdhsa_inst_pref_size 22
		.amdhsa_round_robin_scheduling 0
		.amdhsa_exception_fp_ieee_invalid_op 0
		.amdhsa_exception_fp_denorm_src 0
		.amdhsa_exception_fp_ieee_div_zero 0
		.amdhsa_exception_fp_ieee_overflow 0
		.amdhsa_exception_fp_ieee_underflow 0
		.amdhsa_exception_fp_ieee_inexact 0
		.amdhsa_exception_int_div_zero 0
	.end_amdhsa_kernel
	.section	.text._ZL24rocblas_symm_hemm_kernelILb1ELb0ELi32EPK19rocblas_complex_numIfEPKS3_PKPS1_EvbiiT2_T3_lllSA_lllT4_llli,"axG",@progbits,_ZL24rocblas_symm_hemm_kernelILb1ELb0ELi32EPK19rocblas_complex_numIfEPKS3_PKPS1_EvbiiT2_T3_lllSA_lllT4_llli,comdat
.Lfunc_end56:
	.size	_ZL24rocblas_symm_hemm_kernelILb1ELb0ELi32EPK19rocblas_complex_numIfEPKS3_PKPS1_EvbiiT2_T3_lllSA_lllT4_llli, .Lfunc_end56-_ZL24rocblas_symm_hemm_kernelILb1ELb0ELi32EPK19rocblas_complex_numIfEPKS3_PKPS1_EvbiiT2_T3_lllSA_lllT4_llli
                                        ; -- End function
	.set _ZL24rocblas_symm_hemm_kernelILb1ELb0ELi32EPK19rocblas_complex_numIfEPKS3_PKPS1_EvbiiT2_T3_lllSA_lllT4_llli.num_vgpr, 145
	.set _ZL24rocblas_symm_hemm_kernelILb1ELb0ELi32EPK19rocblas_complex_numIfEPKS3_PKPS1_EvbiiT2_T3_lllSA_lllT4_llli.num_agpr, 0
	.set _ZL24rocblas_symm_hemm_kernelILb1ELb0ELi32EPK19rocblas_complex_numIfEPKS3_PKPS1_EvbiiT2_T3_lllSA_lllT4_llli.numbered_sgpr, 42
	.set _ZL24rocblas_symm_hemm_kernelILb1ELb0ELi32EPK19rocblas_complex_numIfEPKS3_PKPS1_EvbiiT2_T3_lllSA_lllT4_llli.num_named_barrier, 0
	.set _ZL24rocblas_symm_hemm_kernelILb1ELb0ELi32EPK19rocblas_complex_numIfEPKS3_PKPS1_EvbiiT2_T3_lllSA_lllT4_llli.private_seg_size, 0
	.set _ZL24rocblas_symm_hemm_kernelILb1ELb0ELi32EPK19rocblas_complex_numIfEPKS3_PKPS1_EvbiiT2_T3_lllSA_lllT4_llli.uses_vcc, 1
	.set _ZL24rocblas_symm_hemm_kernelILb1ELb0ELi32EPK19rocblas_complex_numIfEPKS3_PKPS1_EvbiiT2_T3_lllSA_lllT4_llli.uses_flat_scratch, 0
	.set _ZL24rocblas_symm_hemm_kernelILb1ELb0ELi32EPK19rocblas_complex_numIfEPKS3_PKPS1_EvbiiT2_T3_lllSA_lllT4_llli.has_dyn_sized_stack, 0
	.set _ZL24rocblas_symm_hemm_kernelILb1ELb0ELi32EPK19rocblas_complex_numIfEPKS3_PKPS1_EvbiiT2_T3_lllSA_lllT4_llli.has_recursion, 0
	.set _ZL24rocblas_symm_hemm_kernelILb1ELb0ELi32EPK19rocblas_complex_numIfEPKS3_PKPS1_EvbiiT2_T3_lllSA_lllT4_llli.has_indirect_call, 0
	.section	.AMDGPU.csdata,"",@progbits
; Kernel info:
; codeLenInByte = 2724
; TotalNumSgprs: 44
; NumVgprs: 145
; ScratchSize: 0
; MemoryBound: 0
; FloatMode: 240
; IeeeMode: 1
; LDSByteSize: 16384 bytes/workgroup (compile time only)
; SGPRBlocks: 0
; VGPRBlocks: 18
; NumSGPRsForWavesPerEU: 44
; NumVGPRsForWavesPerEU: 145
; Occupancy: 9
; WaveLimiterHint : 1
; COMPUTE_PGM_RSRC2:SCRATCH_EN: 0
; COMPUTE_PGM_RSRC2:USER_SGPR: 2
; COMPUTE_PGM_RSRC2:TRAP_HANDLER: 0
; COMPUTE_PGM_RSRC2:TGID_X_EN: 1
; COMPUTE_PGM_RSRC2:TGID_Y_EN: 1
; COMPUTE_PGM_RSRC2:TGID_Z_EN: 1
; COMPUTE_PGM_RSRC2:TIDIG_COMP_CNT: 1
	.section	.text._ZL24rocblas_symm_hemm_kernelILb1ELb1ELi32EPK19rocblas_complex_numIfEPKS3_PKPS1_EvbiiT2_T3_lllSA_lllT4_llli,"axG",@progbits,_ZL24rocblas_symm_hemm_kernelILb1ELb1ELi32EPK19rocblas_complex_numIfEPKS3_PKPS1_EvbiiT2_T3_lllSA_lllT4_llli,comdat
	.globl	_ZL24rocblas_symm_hemm_kernelILb1ELb1ELi32EPK19rocblas_complex_numIfEPKS3_PKPS1_EvbiiT2_T3_lllSA_lllT4_llli ; -- Begin function _ZL24rocblas_symm_hemm_kernelILb1ELb1ELi32EPK19rocblas_complex_numIfEPKS3_PKPS1_EvbiiT2_T3_lllSA_lllT4_llli
	.p2align	8
	.type	_ZL24rocblas_symm_hemm_kernelILb1ELb1ELi32EPK19rocblas_complex_numIfEPKS3_PKPS1_EvbiiT2_T3_lllSA_lllT4_llli,@function
_ZL24rocblas_symm_hemm_kernelILb1ELb1ELi32EPK19rocblas_complex_numIfEPKS3_PKPS1_EvbiiT2_T3_lllSA_lllT4_llli: ; @_ZL24rocblas_symm_hemm_kernelILb1ELb1ELi32EPK19rocblas_complex_numIfEPKS3_PKPS1_EvbiiT2_T3_lllSA_lllT4_llli
; %bb.0:
	s_load_b256 s[4:11], s[0:1], 0x10
	s_wait_kmcnt 0x0
	s_load_b64 s[4:5], s[4:5], 0x0
	s_wait_kmcnt 0x0
	s_cmp_eq_f32 s4, 0
	s_cselect_b32 s2, -1, 0
	s_cmp_eq_f32 s5, 0
	s_cselect_b32 s3, -1, 0
	s_delay_alu instid0(SALU_CYCLE_1) | instskip(NEXT) | instid1(SALU_CYCLE_1)
	s_and_b32 s2, s2, s3
	s_and_b32 vcc_lo, exec_lo, s2
	s_cbranch_vccnz .LBB57_24
; %bb.1:
	s_load_b32 s3, s[0:1], 0x78
	s_lshr_b32 s24, ttmp7, 16
	s_wait_kmcnt 0x0
	s_cmp_ge_u32 s24, s3
	s_cbranch_scc1 .LBB57_24
; %bb.2:
	s_clause 0x1
	s_load_b96 s[20:22], s[0:1], 0x0
	s_load_b128 s[12:15], s[0:1], 0x38
	v_dual_mov_b32 v16, 0 :: v_dual_and_b32 v13, 0x3ff, v0
	s_clause 0x1
	s_load_b64 s[28:29], s[0:1], 0x48
	s_load_b128 s[16:19], s[0:1], 0x58
	v_bfe_u32 v12, v0, 10, 10
	s_load_b64 s[26:27], s[0:1], 0x68
	v_lshl_add_u32 v2, ttmp9, 5, v13
	s_add_nc_u64 s[30:31], s[0:1], 0x80
	v_lshlrev_b32_e32 v14, 8, v13
	v_lshlrev_b32_e32 v0, 3, v12
	s_mov_b32 s25, 0
	v_ashrrev_i32_e32 v3, 31, v2
	s_delay_alu instid0(VALU_DEP_2) | instskip(SKIP_1) | instid1(VALU_DEP_3)
	v_or_b32_e32 v15, 0x2000, v0
	v_add_nc_u32_e32 v17, v14, v0
	v_lshlrev_b64_e32 v[0:1], 3, v[2:3]
	s_delay_alu instid0(VALU_DEP_3)
	v_add_nc_u32_e32 v18, v15, v14
	s_wait_kmcnt 0x0
	s_bitcmp1_b32 s20, 0
	v_add_nc_u32_e32 v19, 0x800, v15
	s_cselect_b32 s0, -1, 0
	s_add_co_i32 s1, s22, -1
	s_wait_alu 0xfffe
	s_and_b32 s20, ttmp7, 0xffff
	s_ashr_i32 s2, s1, 31
	v_lshl_add_u32 v3, s20, 5, v12
	s_lshr_b32 s2, s2, 27
	v_add_nc_u32_e32 v20, 0x1000, v15
	s_add_co_i32 s1, s1, s2
	v_add_nc_u32_e32 v22, 0x1800, v15
	s_wait_alu 0xfffe
	s_ashr_i32 s23, s1, 5
	v_cmp_gt_i32_e64 s1, s21, v2
	s_cmp_le_i32 s20, s23
	v_sub_nc_u32_e32 v21, 0, v3
	s_cselect_b32 s21, -1, 0
	s_cmp_gt_i32 s22, 0
	s_cselect_b32 s33, -1, 0
	s_lshl_b64 s[8:9], s[8:9], 3
	s_lshl_b64 s[18:19], s[18:19], 3
	;; [unrolled: 1-line block ×3, first 2 shown]
	s_branch .LBB57_4
.LBB57_3:                               ;   in Loop: Header=BB57_4 Depth=1
	s_add_co_i32 s24, s24, 0x10000
	s_delay_alu instid0(SALU_CYCLE_1)
	s_cmp_lt_u32 s24, s3
	s_cbranch_scc0 .LBB57_24
.LBB57_4:                               ; =>This Loop Header: Depth=1
                                        ;     Child Loop BB57_7 Depth 2
                                        ;       Child Loop BB57_10 Depth 3
	s_wait_alu 0xfffe
	s_and_not1_b32 vcc_lo, exec_lo, s21
	s_wait_alu 0xfffe
	s_cbranch_vccnz .LBB57_3
; %bb.5:                                ;   in Loop: Header=BB57_4 Depth=1
	s_lshl_b64 s[34:35], s[24:25], 3
	v_mov_b32_e32 v29, v21
	s_wait_alu 0xfffe
	s_add_nc_u64 s[36:37], s[6:7], s[34:35]
	global_load_b64 v[2:3], v16, s[36:37]
	s_add_nc_u64 s[36:37], s[12:13], s[34:35]
	s_add_nc_u64 s[34:35], s[16:17], s[34:35]
	s_clause 0x1
	global_load_b64 v[4:5], v16, s[36:37]
	global_load_b64 v[6:7], v16, s[34:35]
	s_load_b32 s34, s[30:31], 0x4
	s_mov_b32 s36, s20
	s_wait_kmcnt 0x0
	s_lshl_b32 s35, s34, 5
	s_wait_loadcnt 0x2
	v_add_co_u32 v23, vcc_lo, v2, s8
	s_wait_alu 0xfffd
	v_add_co_ci_u32_e64 v24, null, s9, v3, vcc_lo
	s_wait_loadcnt 0x1
	v_add_co_u32 v2, vcc_lo, v4, s14
	s_wait_alu 0xfffd
	v_add_co_ci_u32_e64 v3, null, s15, v5, vcc_lo
	;; [unrolled: 4-line block ×3, first 2 shown]
	v_add_co_u32 v25, vcc_lo, v2, v0
	s_wait_alu 0xfffd
	v_add_co_ci_u32_e64 v26, null, v3, v1, vcc_lo
	v_add_co_u32 v27, vcc_lo, v4, v0
	s_wait_alu 0xfffd
	v_add_co_ci_u32_e64 v28, null, v5, v1, vcc_lo
	s_branch .LBB57_7
.LBB57_6:                               ;   in Loop: Header=BB57_7 Depth=2
	v_subrev_nc_u32_e32 v29, s35, v29
	s_add_co_i32 s36, s36, s34
	s_wait_alu 0xfffe
	s_cmp_gt_i32 s36, s23
	s_cbranch_scc1 .LBB57_3
.LBB57_7:                               ;   Parent Loop BB57_4 Depth=1
                                        ; =>  This Loop Header: Depth=2
                                        ;       Child Loop BB57_10 Depth 3
	s_and_not1_b32 vcc_lo, exec_lo, s33
	s_wait_alu 0xfffe
	s_cbranch_vccnz .LBB57_6
; %bb.8:                                ;   in Loop: Header=BB57_7 Depth=2
	v_lshl_add_u32 v2, s36, 5, v12
	v_add_nc_u32_e32 v34, v13, v29
	s_mov_b32 s38, 0
	s_delay_alu instid0(VALU_DEP_2) | instskip(SKIP_3) | instid1(VALU_DEP_4)
	v_ashrrev_i32_e32 v3, 31, v2
	v_mul_lo_u32 v8, s11, v2
	v_mad_co_u64_u32 v[4:5], null, s10, v2, 0
	v_mul_lo_u32 v10, s27, v2
	v_mul_lo_u32 v9, s10, v3
	v_mad_co_u64_u32 v[6:7], null, s26, v2, 0
	v_mul_lo_u32 v11, s26, v3
	v_cmp_gt_i32_e32 vcc_lo, s22, v2
	s_delay_alu instid0(VALU_DEP_4) | instskip(SKIP_2) | instid1(VALU_DEP_4)
	v_add3_u32 v5, v5, v9, v8
	v_lshlrev_b64_e32 v[8:9], 3, v[2:3]
	s_and_b32 s37, s1, vcc_lo
	v_add3_u32 v7, v7, v11, v10
	s_delay_alu instid0(VALU_DEP_3) | instskip(NEXT) | instid1(VALU_DEP_3)
	v_lshlrev_b64_e32 v[3:4], 3, v[4:5]
	v_add_co_u32 v30, s2, v23, v8
	s_delay_alu instid0(VALU_DEP_3) | instskip(SKIP_2) | instid1(VALU_DEP_4)
	v_lshlrev_b64_e32 v[5:6], 3, v[6:7]
	s_wait_alu 0xf1ff
	v_add_co_ci_u32_e64 v31, null, v24, v9, s2
	v_add_co_u32 v32, s2, v23, v3
	s_wait_alu 0xf1ff
	v_add_co_ci_u32_e64 v33, null, v24, v4, s2
	v_add_co_u32 v3, s2, v27, v5
	;; [unrolled: 3-line block ×3, first 2 shown]
	s_wait_alu 0xf1ff
	v_add_co_ci_u32_e64 v6, null, v33, v9, s2
	s_branch .LBB57_10
.LBB57_9:                               ;   in Loop: Header=BB57_10 Depth=3
	s_wait_alu 0xfffe
	s_or_b32 exec_lo, exec_lo, s2
	s_add_co_i32 s38, s38, 32
	s_wait_storecnt 0x0
	s_wait_loadcnt_dscnt 0x0
	s_wait_alu 0xfffe
	s_cmp_ge_i32 s38, s22
	s_barrier_signal -1
	s_barrier_wait -1
	global_inv scope:SCOPE_SE
	s_cbranch_scc1 .LBB57_6
.LBB57_10:                              ;   Parent Loop BB57_4 Depth=1
                                        ;     Parent Loop BB57_7 Depth=2
                                        ; =>    This Inner Loop Header: Depth=3
	s_wait_alu 0xfffe
	v_dual_mov_b32 v7, 0 :: v_dual_add_nc_u32 v8, s38, v12
	v_dual_mov_b32 v10, 0 :: v_dual_mov_b32 v11, 0
	s_delay_alu instid0(VALU_DEP_2)
	v_cmp_gt_i32_e32 vcc_lo, s22, v8
	s_and_b32 s39, s1, vcc_lo
	s_wait_alu 0xfffe
	s_and_saveexec_b32 s2, s39
	s_cbranch_execz .LBB57_12
; %bb.11:                               ;   in Loop: Header=BB57_10 Depth=3
	v_ashrrev_i32_e32 v10, 31, v8
	v_mul_lo_u32 v11, s29, v8
	v_mad_co_u64_u32 v[8:9], null, s28, v8, 0
	s_delay_alu instid0(VALU_DEP_3) | instskip(NEXT) | instid1(VALU_DEP_1)
	v_mul_lo_u32 v10, s28, v10
	v_add3_u32 v9, v9, v10, v11
	s_delay_alu instid0(VALU_DEP_1) | instskip(NEXT) | instid1(VALU_DEP_1)
	v_lshlrev_b64_e32 v[8:9], 3, v[8:9]
	v_add_co_u32 v8, vcc_lo, v25, v8
	s_wait_alu 0xfffd
	s_delay_alu instid0(VALU_DEP_2)
	v_add_co_ci_u32_e64 v9, null, v26, v9, vcc_lo
	flat_load_b64 v[10:11], v[8:9]
.LBB57_12:                              ;   in Loop: Header=BB57_10 Depth=3
	s_wait_alu 0xfffe
	s_or_b32 exec_lo, exec_lo, s2
	v_add_nc_u32_e32 v9, s38, v13
	s_mov_b32 s39, exec_lo
	s_wait_loadcnt_dscnt 0x0
	ds_store_b64 v17, v[10:11]
	v_cndmask_b32_e64 v8, v2, v9, s0
	v_cndmask_b32_e64 v35, v9, v2, s0
	s_delay_alu instid0(VALU_DEP_1) | instskip(SKIP_4) | instid1(VALU_DEP_3)
	v_cmp_gt_i32_e32 vcc_lo, v8, v35
	s_wait_alu 0xfffd
	v_dual_cndmask_b32 v36, v9, v2 :: v_dual_cndmask_b32 v37, v2, v9
	v_cmp_le_i32_e32 vcc_lo, v8, v35
	v_mov_b32_e32 v8, 0
	v_max_i32_e32 v36, v36, v37
	s_delay_alu instid0(VALU_DEP_1)
	v_cmpx_gt_i32_e64 s22, v36
	s_cbranch_execz .LBB57_22
; %bb.13:                               ;   in Loop: Header=BB57_10 Depth=3
                                        ; implicit-def: $vgpr8
	s_and_saveexec_b32 s2, vcc_lo
	s_wait_alu 0xfffe
	s_xor_b32 s2, exec_lo, s2
	s_cbranch_execz .LBB57_19
; %bb.14:                               ;   in Loop: Header=BB57_10 Depth=3
	v_add_nc_u32_e32 v7, s38, v34
	s_delay_alu instid0(VALU_DEP_1) | instskip(SKIP_1) | instid1(SALU_CYCLE_1)
	v_cmp_ne_u32_e32 vcc_lo, 0, v7
                                        ; implicit-def: $vgpr8
	s_and_saveexec_b32 s40, vcc_lo
	s_xor_b32 s40, exec_lo, s40
	s_cbranch_execz .LBB57_16
; %bb.15:                               ;   in Loop: Header=BB57_10 Depth=3
	v_ashrrev_i32_e32 v10, 31, v9
	s_delay_alu instid0(VALU_DEP_1) | instskip(NEXT) | instid1(VALU_DEP_1)
	v_lshlrev_b64_e32 v[7:8], 3, v[9:10]
	v_add_co_u32 v7, vcc_lo, v32, v7
	s_wait_alu 0xfffd
	s_delay_alu instid0(VALU_DEP_2)
	v_add_co_ci_u32_e64 v8, null, v33, v8, vcc_lo
	flat_load_b64 v[7:8], v[7:8]
.LBB57_16:                              ;   in Loop: Header=BB57_10 Depth=3
	s_and_not1_saveexec_b32 s40, s40
	s_cbranch_execz .LBB57_18
; %bb.17:                               ;   in Loop: Header=BB57_10 Depth=3
	s_wait_loadcnt_dscnt 0x0
	flat_load_b32 v7, v[5:6]
	v_mov_b32_e32 v8, 0
.LBB57_18:                              ;   in Loop: Header=BB57_10 Depth=3
	s_or_b32 exec_lo, exec_lo, s40
                                        ; implicit-def: $vgpr9
.LBB57_19:                              ;   in Loop: Header=BB57_10 Depth=3
	s_wait_alu 0xfffe
	s_and_not1_saveexec_b32 s2, s2
	s_cbranch_execz .LBB57_21
; %bb.20:                               ;   in Loop: Header=BB57_10 Depth=3
	v_ashrrev_i32_e32 v10, 31, v9
	v_mul_lo_u32 v11, s11, v9
	s_wait_loadcnt_dscnt 0x0
	v_mad_co_u64_u32 v[7:8], null, s10, v9, 0
	s_delay_alu instid0(VALU_DEP_3) | instskip(NEXT) | instid1(VALU_DEP_1)
	v_mul_lo_u32 v9, s10, v10
	v_add3_u32 v8, v8, v9, v11
	s_delay_alu instid0(VALU_DEP_1) | instskip(NEXT) | instid1(VALU_DEP_1)
	v_lshlrev_b64_e32 v[7:8], 3, v[7:8]
	v_add_co_u32 v7, vcc_lo, v30, v7
	s_wait_alu 0xfffd
	s_delay_alu instid0(VALU_DEP_2)
	v_add_co_ci_u32_e64 v8, null, v31, v8, vcc_lo
	flat_load_b64 v[7:8], v[7:8]
	s_wait_loadcnt_dscnt 0x0
	v_xor_b32_e32 v8, 0x80000000, v8
.LBB57_21:                              ;   in Loop: Header=BB57_10 Depth=3
	s_wait_alu 0xfffe
	s_or_b32 exec_lo, exec_lo, s2
.LBB57_22:                              ;   in Loop: Header=BB57_10 Depth=3
	s_wait_alu 0xfffe
	s_or_b32 exec_lo, exec_lo, s39
	s_wait_loadcnt_dscnt 0x0
	ds_store_b64 v18, v[7:8]
	s_wait_dscnt 0x0
	s_barrier_signal -1
	s_barrier_wait -1
	global_inv scope:SCOPE_SE
	s_and_saveexec_b32 s2, s37
	s_cbranch_execz .LBB57_9
; %bb.23:                               ;   in Loop: Header=BB57_10 Depth=3
	flat_load_b64 v[7:8], v[3:4]
	ds_load_2addr_b64 v[35:38], v15 offset1:32
	ds_load_b128 v[39:42], v14
	ds_load_b128 v[43:46], v14 offset:16
	ds_load_b128 v[47:50], v14 offset:32
	;; [unrolled: 1-line block ×3, first 2 shown]
	ds_load_2addr_b64 v[55:58], v15 offset0:64 offset1:96
	ds_load_2addr_b64 v[59:62], v15 offset0:128 offset1:160
	;; [unrolled: 1-line block ×3, first 2 shown]
	ds_load_2addr_b64 v[67:70], v19 offset1:32
	ds_load_b128 v[71:74], v14 offset:64
	ds_load_b128 v[75:78], v14 offset:80
	ds_load_2addr_b64 v[79:82], v19 offset0:64 offset1:96
	ds_load_2addr_b64 v[83:86], v19 offset0:128 offset1:160
	ds_load_b128 v[87:90], v14 offset:96
	ds_load_b128 v[91:94], v14 offset:112
	ds_load_2addr_b64 v[95:98], v19 offset0:192 offset1:224
	ds_load_2addr_b64 v[99:102], v20 offset1:32
	ds_load_b128 v[103:106], v14 offset:128
	ds_load_b128 v[107:110], v14 offset:144
	ds_load_2addr_b64 v[111:114], v20 offset0:64 offset1:96
	ds_load_2addr_b64 v[115:118], v20 offset0:128 offset1:160
	ds_load_b128 v[119:122], v14 offset:160
	ds_load_b128 v[123:126], v14 offset:176
	ds_load_2addr_b64 v[127:130], v20 offset0:192 offset1:224
	ds_load_2addr_b64 v[131:134], v22 offset1:32
	s_wait_dscnt 0x17
	v_dual_mul_f32 v10, v35, v40 :: v_dual_mul_f32 v11, v38, v42
	v_mul_f32_e32 v9, v36, v40
	s_wait_dscnt 0x12
	v_dual_mul_f32 v137, v57, v46 :: v_dual_mul_f32 v138, v59, v48
	s_delay_alu instid0(VALU_DEP_3)
	v_dual_fmac_f32 v10, v36, v39 :: v_dual_mul_f32 v135, v37, v42
	v_mul_f32_e32 v40, v56, v44
	v_mul_f32_e32 v42, v58, v46
	v_fma_f32 v9, v35, v39, -v9
	v_dual_fmac_f32 v137, v58, v45 :: v_dual_fmac_f32 v138, v60, v47
	s_wait_dscnt 0x11
	v_dual_mul_f32 v145, v65, v54 :: v_dual_mul_f32 v144, v63, v52
	v_dual_mul_f32 v136, v55, v44 :: v_dual_fmac_f32 v135, v38, v41
	v_fma_f32 v11, v37, v41, -v11
	v_dual_mul_f32 v44, v60, v48 :: v_dual_mul_f32 v139, v61, v50
	v_mul_f32_e32 v48, v66, v54
	v_dual_fmac_f32 v145, v66, v53 :: v_dual_fmac_f32 v144, v64, v51
	v_dual_add_f32 v9, 0, v9 :: v_dual_add_f32 v10, 0, v10
	v_mul_f32_e32 v46, v62, v50
	v_fma_f32 v140, v55, v43, -v40
	v_dual_fmac_f32 v136, v56, v43 :: v_dual_fmac_f32 v139, v62, v49
	v_fma_f32 v142, v59, v47, -v44
	v_mul_f32_e32 v47, v64, v52
	v_fma_f32 v64, v65, v53, -v48
	s_wait_dscnt 0xf
	v_dual_mul_f32 v65, v67, v72 :: v_dual_mul_f32 v66, v69, v74
	v_add_f32_e32 v9, v9, v11
	s_wait_dscnt 0xd
	v_dual_add_f32 v10, v10, v135 :: v_dual_mul_f32 v11, v80, v76
	v_fma_f32 v141, v57, v45, -v42
	v_mul_f32_e32 v52, v68, v72
	v_dual_fmac_f32 v65, v68, v71 :: v_dual_fmac_f32 v66, v70, v73
	v_add_f32_e32 v9, v9, v140
	v_add_f32_e32 v10, v10, v136
	v_fma_f32 v63, v63, v51, -v47
	v_mul_f32_e32 v51, v70, v74
	v_fma_f32 v67, v67, v71, -v52
	v_add_f32_e32 v9, v9, v141
	v_dual_mul_f32 v71, v81, v78 :: v_dual_add_f32 v10, v10, v137
	v_fma_f32 v143, v61, v49, -v46
	v_fma_f32 v68, v69, v73, -v51
	v_dual_mul_f32 v69, v79, v76 :: v_dual_mul_f32 v70, v82, v78
	s_wait_dscnt 0xb
	v_dual_mul_f32 v73, v83, v88 :: v_dual_add_f32 v10, v10, v138
	s_wait_dscnt 0x9
	v_dual_add_f32 v9, v9, v142 :: v_dual_mul_f32 v76, v96, v92
	v_fma_f32 v11, v79, v75, -v11
	v_dual_fmac_f32 v69, v80, v75 :: v_dual_mul_f32 v74, v86, v90
	v_dual_mul_f32 v75, v85, v90 :: v_dual_add_f32 v10, v10, v139
	s_wait_dscnt 0x7
	v_dual_add_f32 v9, v9, v143 :: v_dual_mul_f32 v80, v100, v104
	v_dual_mul_f32 v79, v97, v94 :: v_dual_mul_f32 v72, v84, v88
	v_fmac_f32_e32 v71, v82, v77
	s_delay_alu instid0(VALU_DEP_3)
	v_dual_add_f32 v10, v10, v144 :: v_dual_add_f32 v9, v9, v63
	s_wait_dscnt 0x5
	v_mul_f32_e32 v90, v114, v110
	ds_load_b128 v[35:38], v14 offset:192
	ds_load_b128 v[39:42], v14 offset:208
	v_fma_f32 v70, v81, v77, -v70
	v_dual_add_f32 v10, v10, v145 :: v_dual_add_f32 v9, v9, v64
	v_mul_f32_e32 v88, v111, v108
	v_dual_mul_f32 v77, v95, v92 :: v_dual_mul_f32 v78, v98, v94
	s_delay_alu instid0(VALU_DEP_3) | instskip(NEXT) | instid1(VALU_DEP_4)
	v_dual_add_f32 v10, v10, v65 :: v_dual_mul_f32 v65, v113, v110
	v_add_f32_e32 v9, v9, v67
	s_wait_dscnt 0x5
	v_mul_f32_e32 v67, v116, v120
	s_delay_alu instid0(VALU_DEP_3) | instskip(NEXT) | instid1(VALU_DEP_3)
	v_dual_fmac_f32 v73, v84, v87 :: v_dual_add_f32 v10, v10, v66
	v_dual_mul_f32 v66, v118, v122 :: v_dual_add_f32 v9, v9, v68
	v_dual_mul_f32 v92, v115, v120 :: v_dual_fmac_f32 v75, v86, v89
	s_delay_alu instid0(VALU_DEP_3)
	v_add_f32_e32 v10, v10, v69
	v_fma_f32 v69, v83, v87, -v72
	s_wait_dscnt 0x3
	v_dual_add_f32 v9, v9, v11 :: v_dual_mul_f32 v94, v128, v124
	v_fma_f32 v72, v95, v91, -v76
	v_fmac_f32_e32 v77, v96, v91
	v_fmac_f32_e32 v79, v98, v93
	s_delay_alu instid0(VALU_DEP_4)
	v_dual_add_f32 v9, v9, v70 :: v_dual_add_f32 v10, v10, v71
	v_fma_f32 v71, v85, v89, -v74
	v_mul_f32_e32 v70, v130, v126
	ds_load_2addr_b64 v[43:46], v22 offset0:64 offset1:96
	v_add_f32_e32 v9, v9, v69
	v_dual_add_f32 v10, v10, v73 :: v_dual_mul_f32 v69, v129, v126
	v_dual_mul_f32 v63, v99, v104 :: v_dual_mul_f32 v82, v101, v106
	s_delay_alu instid0(VALU_DEP_3)
	v_add_f32_e32 v9, v9, v71
	s_wait_dscnt 0x2
	v_mul_f32_e32 v71, v132, v36
	v_mul_f32_e32 v36, v131, v36
	v_add_f32_e32 v10, v10, v75
	v_fma_f32 v73, v97, v93, -v78
	v_add_f32_e32 v9, v9, v72
	v_dual_mul_f32 v81, v102, v106 :: v_dual_mul_f32 v64, v112, v108
	s_delay_alu instid0(VALU_DEP_4)
	v_add_f32_e32 v10, v10, v77
	v_fma_f32 v72, v99, v103, -v80
	v_dual_fmac_f32 v63, v100, v103 :: v_dual_fmac_f32 v82, v102, v105
	v_add_f32_e32 v9, v9, v73
	v_dual_mul_f32 v73, v134, v38 :: v_dual_fmac_f32 v88, v112, v107
	v_mul_f32_e32 v38, v133, v38
	v_add_f32_e32 v10, v10, v79
	v_fma_f32 v74, v101, v105, -v81
	v_fmac_f32_e32 v65, v114, v109
	ds_load_2addr_b64 v[47:50], v22 offset0:128 offset1:160
	v_dual_mul_f32 v68, v117, v122 :: v_dual_mul_f32 v11, v127, v124
	v_dual_add_f32 v10, v10, v63 :: v_dual_add_f32 v9, v9, v72
	v_fma_f32 v63, v111, v107, -v64
	s_wait_dscnt 0x1
	v_mul_f32_e32 v64, v44, v40
	v_fma_f32 v72, v113, v109, -v90
	v_add_f32_e32 v10, v10, v82
	v_dual_add_f32 v9, v9, v74 :: v_dual_mul_f32 v40, v43, v40
	ds_load_b128 v[51:54], v14 offset:224
	ds_load_b128 v[55:58], v14 offset:240
	ds_load_2addr_b64 v[59:62], v22 offset0:192 offset1:224
	v_fma_f32 v66, v117, v121, -v66
	v_dual_add_f32 v10, v10, v88 :: v_dual_add_f32 v9, v9, v63
	v_fma_f32 v63, v115, v119, -v67
	v_fmac_f32_e32 v92, v116, v119
	v_dual_fmac_f32 v68, v118, v121 :: v_dual_fmac_f32 v11, v128, v123
	s_delay_alu instid0(VALU_DEP_4) | instskip(SKIP_2) | instid1(VALU_DEP_3)
	v_dual_add_f32 v9, v9, v72 :: v_dual_add_f32 v10, v10, v65
	v_mul_f32_e32 v65, v46, v42
	v_dual_mul_f32 v42, v45, v42 :: v_dual_fmac_f32 v69, v130, v125
	v_dual_add_f32 v9, v9, v63 :: v_dual_add_f32 v10, v10, v92
	v_fma_f32 v63, v127, v123, -v94
	v_fma_f32 v67, v129, v125, -v70
	s_delay_alu instid0(VALU_DEP_3) | instskip(NEXT) | instid1(VALU_DEP_4)
	v_dual_fmac_f32 v36, v132, v35 :: v_dual_add_f32 v9, v9, v66
	v_add_f32_e32 v10, v10, v68
	s_wait_dscnt 0x2
	s_delay_alu instid0(VALU_DEP_2) | instskip(NEXT) | instid1(VALU_DEP_2)
	v_dual_mul_f32 v66, v48, v52 :: v_dual_add_f32 v9, v9, v63
	v_dual_add_f32 v10, v10, v11 :: v_dual_mul_f32 v11, v47, v52
	v_fma_f32 v52, v131, v35, -v71
	v_fma_f32 v63, v133, v37, -v73
	s_delay_alu instid0(VALU_DEP_3) | instskip(SKIP_3) | instid1(VALU_DEP_4)
	v_dual_add_f32 v9, v9, v67 :: v_dual_add_f32 v10, v10, v69
	v_fmac_f32_e32 v38, v134, v37
	v_mul_f32_e32 v35, v50, v54
	v_fma_f32 v37, v43, v39, -v64
	v_add_f32_e32 v9, v9, v52
	v_dual_add_f32 v10, v10, v36 :: v_dual_fmac_f32 v11, v48, v51
	v_mul_f32_e32 v36, v49, v54
	v_fma_f32 v35, v49, v53, -v35
	s_delay_alu instid0(VALU_DEP_4)
	v_add_f32_e32 v9, v9, v63
	v_fmac_f32_e32 v40, v44, v39
	v_add_f32_e32 v10, v10, v38
	v_fma_f32 v39, v45, v41, -v65
	s_wait_dscnt 0x0
	v_dual_add_f32 v9, v9, v37 :: v_dual_mul_f32 v38, v60, v56
	s_delay_alu instid0(VALU_DEP_3) | instskip(SKIP_2) | instid1(VALU_DEP_4)
	v_add_f32_e32 v10, v10, v40
	v_fma_f32 v40, v47, v51, -v66
	v_mul_f32_e32 v37, v59, v56
	v_dual_add_f32 v9, v9, v39 :: v_dual_fmac_f32 v42, v46, v41
	v_mul_f32_e32 v39, v62, v58
	v_fma_f32 v38, v59, v55, -v38
	s_delay_alu instid0(VALU_DEP_4) | instskip(NEXT) | instid1(VALU_DEP_4)
	v_fmac_f32_e32 v37, v60, v55
	v_dual_add_f32 v9, v9, v40 :: v_dual_add_f32 v10, v10, v42
	s_delay_alu instid0(VALU_DEP_1) | instskip(NEXT) | instid1(VALU_DEP_2)
	v_dual_fmac_f32 v36, v50, v53 :: v_dual_add_f32 v9, v9, v35
	v_dual_add_f32 v10, v10, v11 :: v_dual_mul_f32 v11, v61, v58
	v_fma_f32 v35, v61, v57, -v39
	s_delay_alu instid0(VALU_DEP_2) | instskip(NEXT) | instid1(VALU_DEP_3)
	v_dual_add_f32 v9, v9, v38 :: v_dual_add_f32 v10, v10, v36
	v_fmac_f32_e32 v11, v62, v57
	s_delay_alu instid0(VALU_DEP_2) | instskip(NEXT) | instid1(VALU_DEP_1)
	v_dual_add_f32 v9, v9, v35 :: v_dual_add_f32 v10, v10, v37
	v_dual_mul_f32 v35, s5, v9 :: v_dual_add_f32 v10, v10, v11
	s_delay_alu instid0(VALU_DEP_1) | instskip(NEXT) | instid1(VALU_DEP_2)
	v_mul_f32_e32 v11, s5, v10
	v_fmac_f32_e32 v35, s4, v10
	s_delay_alu instid0(VALU_DEP_2) | instskip(SKIP_1) | instid1(VALU_DEP_1)
	v_fma_f32 v9, s4, v9, -v11
	s_wait_loadcnt 0x0
	v_dual_add_f32 v7, v7, v9 :: v_dual_add_f32 v8, v8, v35
	flat_store_b64 v[3:4], v[7:8]
	s_branch .LBB57_9
.LBB57_24:
	s_endpgm
	.section	.rodata,"a",@progbits
	.p2align	6, 0x0
	.amdhsa_kernel _ZL24rocblas_symm_hemm_kernelILb1ELb1ELi32EPK19rocblas_complex_numIfEPKS3_PKPS1_EvbiiT2_T3_lllSA_lllT4_llli
		.amdhsa_group_segment_fixed_size 16384
		.amdhsa_private_segment_fixed_size 0
		.amdhsa_kernarg_size 384
		.amdhsa_user_sgpr_count 2
		.amdhsa_user_sgpr_dispatch_ptr 0
		.amdhsa_user_sgpr_queue_ptr 0
		.amdhsa_user_sgpr_kernarg_segment_ptr 1
		.amdhsa_user_sgpr_dispatch_id 0
		.amdhsa_user_sgpr_private_segment_size 0
		.amdhsa_wavefront_size32 1
		.amdhsa_uses_dynamic_stack 0
		.amdhsa_enable_private_segment 0
		.amdhsa_system_sgpr_workgroup_id_x 1
		.amdhsa_system_sgpr_workgroup_id_y 1
		.amdhsa_system_sgpr_workgroup_id_z 1
		.amdhsa_system_sgpr_workgroup_info 0
		.amdhsa_system_vgpr_workitem_id 1
		.amdhsa_next_free_vgpr 146
		.amdhsa_next_free_sgpr 41
		.amdhsa_reserve_vcc 1
		.amdhsa_float_round_mode_32 0
		.amdhsa_float_round_mode_16_64 0
		.amdhsa_float_denorm_mode_32 3
		.amdhsa_float_denorm_mode_16_64 3
		.amdhsa_fp16_overflow 0
		.amdhsa_workgroup_processor_mode 1
		.amdhsa_memory_ordered 1
		.amdhsa_forward_progress 1
		.amdhsa_inst_pref_size 22
		.amdhsa_round_robin_scheduling 0
		.amdhsa_exception_fp_ieee_invalid_op 0
		.amdhsa_exception_fp_denorm_src 0
		.amdhsa_exception_fp_ieee_div_zero 0
		.amdhsa_exception_fp_ieee_overflow 0
		.amdhsa_exception_fp_ieee_underflow 0
		.amdhsa_exception_fp_ieee_inexact 0
		.amdhsa_exception_int_div_zero 0
	.end_amdhsa_kernel
	.section	.text._ZL24rocblas_symm_hemm_kernelILb1ELb1ELi32EPK19rocblas_complex_numIfEPKS3_PKPS1_EvbiiT2_T3_lllSA_lllT4_llli,"axG",@progbits,_ZL24rocblas_symm_hemm_kernelILb1ELb1ELi32EPK19rocblas_complex_numIfEPKS3_PKPS1_EvbiiT2_T3_lllSA_lllT4_llli,comdat
.Lfunc_end57:
	.size	_ZL24rocblas_symm_hemm_kernelILb1ELb1ELi32EPK19rocblas_complex_numIfEPKS3_PKPS1_EvbiiT2_T3_lllSA_lllT4_llli, .Lfunc_end57-_ZL24rocblas_symm_hemm_kernelILb1ELb1ELi32EPK19rocblas_complex_numIfEPKS3_PKPS1_EvbiiT2_T3_lllSA_lllT4_llli
                                        ; -- End function
	.set _ZL24rocblas_symm_hemm_kernelILb1ELb1ELi32EPK19rocblas_complex_numIfEPKS3_PKPS1_EvbiiT2_T3_lllSA_lllT4_llli.num_vgpr, 146
	.set _ZL24rocblas_symm_hemm_kernelILb1ELb1ELi32EPK19rocblas_complex_numIfEPKS3_PKPS1_EvbiiT2_T3_lllSA_lllT4_llli.num_agpr, 0
	.set _ZL24rocblas_symm_hemm_kernelILb1ELb1ELi32EPK19rocblas_complex_numIfEPKS3_PKPS1_EvbiiT2_T3_lllSA_lllT4_llli.numbered_sgpr, 41
	.set _ZL24rocblas_symm_hemm_kernelILb1ELb1ELi32EPK19rocblas_complex_numIfEPKS3_PKPS1_EvbiiT2_T3_lllSA_lllT4_llli.num_named_barrier, 0
	.set _ZL24rocblas_symm_hemm_kernelILb1ELb1ELi32EPK19rocblas_complex_numIfEPKS3_PKPS1_EvbiiT2_T3_lllSA_lllT4_llli.private_seg_size, 0
	.set _ZL24rocblas_symm_hemm_kernelILb1ELb1ELi32EPK19rocblas_complex_numIfEPKS3_PKPS1_EvbiiT2_T3_lllSA_lllT4_llli.uses_vcc, 1
	.set _ZL24rocblas_symm_hemm_kernelILb1ELb1ELi32EPK19rocblas_complex_numIfEPKS3_PKPS1_EvbiiT2_T3_lllSA_lllT4_llli.uses_flat_scratch, 0
	.set _ZL24rocblas_symm_hemm_kernelILb1ELb1ELi32EPK19rocblas_complex_numIfEPKS3_PKPS1_EvbiiT2_T3_lllSA_lllT4_llli.has_dyn_sized_stack, 0
	.set _ZL24rocblas_symm_hemm_kernelILb1ELb1ELi32EPK19rocblas_complex_numIfEPKS3_PKPS1_EvbiiT2_T3_lllSA_lllT4_llli.has_recursion, 0
	.set _ZL24rocblas_symm_hemm_kernelILb1ELb1ELi32EPK19rocblas_complex_numIfEPKS3_PKPS1_EvbiiT2_T3_lllSA_lllT4_llli.has_indirect_call, 0
	.section	.AMDGPU.csdata,"",@progbits
; Kernel info:
; codeLenInByte = 2724
; TotalNumSgprs: 43
; NumVgprs: 146
; ScratchSize: 0
; MemoryBound: 0
; FloatMode: 240
; IeeeMode: 1
; LDSByteSize: 16384 bytes/workgroup (compile time only)
; SGPRBlocks: 0
; VGPRBlocks: 18
; NumSGPRsForWavesPerEU: 43
; NumVGPRsForWavesPerEU: 146
; Occupancy: 9
; WaveLimiterHint : 1
; COMPUTE_PGM_RSRC2:SCRATCH_EN: 0
; COMPUTE_PGM_RSRC2:USER_SGPR: 2
; COMPUTE_PGM_RSRC2:TRAP_HANDLER: 0
; COMPUTE_PGM_RSRC2:TGID_X_EN: 1
; COMPUTE_PGM_RSRC2:TGID_Y_EN: 1
; COMPUTE_PGM_RSRC2:TGID_Z_EN: 1
; COMPUTE_PGM_RSRC2:TIDIG_COMP_CNT: 1
	.section	.text._ZL24rocblas_symm_hemm_kernelILb1ELb0ELi32E19rocblas_complex_numIfEPKPKS1_PKPS1_EvbiiT2_T3_lllSA_lllT4_llli,"axG",@progbits,_ZL24rocblas_symm_hemm_kernelILb1ELb0ELi32E19rocblas_complex_numIfEPKPKS1_PKPS1_EvbiiT2_T3_lllSA_lllT4_llli,comdat
	.globl	_ZL24rocblas_symm_hemm_kernelILb1ELb0ELi32E19rocblas_complex_numIfEPKPKS1_PKPS1_EvbiiT2_T3_lllSA_lllT4_llli ; -- Begin function _ZL24rocblas_symm_hemm_kernelILb1ELb0ELi32E19rocblas_complex_numIfEPKPKS1_PKPS1_EvbiiT2_T3_lllSA_lllT4_llli
	.p2align	8
	.type	_ZL24rocblas_symm_hemm_kernelILb1ELb0ELi32E19rocblas_complex_numIfEPKPKS1_PKPS1_EvbiiT2_T3_lllSA_lllT4_llli,@function
_ZL24rocblas_symm_hemm_kernelILb1ELb0ELi32E19rocblas_complex_numIfEPKPKS1_PKPS1_EvbiiT2_T3_lllSA_lllT4_llli: ; @_ZL24rocblas_symm_hemm_kernelILb1ELb0ELi32E19rocblas_complex_numIfEPKPKS1_PKPS1_EvbiiT2_T3_lllSA_lllT4_llli
; %bb.0:
	s_clause 0x1
	s_load_b128 s[4:7], s[0:1], 0x0
	s_load_b32 s30, s[0:1], 0x10
	s_wait_kmcnt 0x0
	s_cmp_eq_f32 s7, 0
	s_cselect_b32 s2, -1, 0
	s_cmp_eq_f32 s30, 0
	s_cselect_b32 s3, -1, 0
	s_delay_alu instid0(SALU_CYCLE_1) | instskip(NEXT) | instid1(SALU_CYCLE_1)
	s_and_b32 s2, s2, s3
	s_and_b32 vcc_lo, exec_lo, s2
	s_cbranch_vccnz .LBB58_24
; %bb.1:
	s_load_b32 s31, s[0:1], 0x78
	s_lshr_b32 s20, ttmp7, 16
	s_wait_kmcnt 0x0
	s_cmp_ge_u32 s20, s31
	s_cbranch_scc1 .LBB58_24
; %bb.2:
	s_clause 0x1
	s_load_b64 s[22:23], s[0:1], 0x28
	s_load_b128 s[8:11], s[0:1], 0x18
	v_dual_mov_b32 v21, 0 :: v_dual_and_b32 v16, 0x3ff, v0
	s_clause 0x3
	s_load_b128 s[12:15], s[0:1], 0x38
	s_load_b64 s[24:25], s[0:1], 0x48
	s_load_b64 s[26:27], s[0:1], 0x68
	s_load_b128 s[16:19], s[0:1], 0x58
	v_bfe_u32 v0, v0, 10, 10
	v_lshl_add_u32 v1, ttmp9, 5, v16
	s_bitcmp1_b32 s4, 0
	v_lshlrev_b32_e32 v17, 8, v16
	s_cselect_b32 s2, -1, 0
	s_add_co_i32 s3, s6, -1
	v_ashrrev_i32_e32 v2, 31, v1
	v_lshlrev_b32_e32 v7, 3, v0
	s_ashr_i32 s4, s3, 31
	s_mov_b32 s21, 0
	s_lshr_b32 s4, s4, 27
	s_add_nc_u64 s[28:29], s[0:1], 0x80
	s_add_co_i32 s3, s3, s4
	v_or_b32_e32 v18, 0x2000, v7
	s_wait_kmcnt 0x0
	v_mul_lo_u32 v3, s22, v2
	v_mul_lo_u32 v6, s23, v1
	v_mad_co_u64_u32 v[4:5], null, s22, v1, 0
	s_and_b32 s4, ttmp7, 0xffff
	s_ashr_i32 s33, s3, 5
	v_add_nc_u32_e32 v19, v17, v7
	s_cmp_le_i32 s4, s33
	v_add_nc_u32_e32 v20, v18, v17
	v_cmp_gt_i32_e64 s3, s5, v1
	v_add3_u32 v5, v5, v3, v6
	v_lshlrev_b64_e32 v[2:3], 3, v[1:2]
	v_add_nc_u32_e32 v22, 0x800, v18
	v_add_nc_u32_e32 v23, 0x1000, v18
	;; [unrolled: 1-line block ×3, first 2 shown]
	v_lshlrev_b64_e32 v[4:5], 3, v[4:5]
	s_cselect_b32 s34, -1, 0
	s_cmp_gt_i32 s5, 0
	s_cselect_b32 s35, -1, 0
	s_lshl_b64 s[14:15], s[14:15], 3
	s_lshl_b64 s[18:19], s[18:19], 3
	;; [unrolled: 1-line block ×3, first 2 shown]
	s_branch .LBB58_4
.LBB58_3:                               ;   in Loop: Header=BB58_4 Depth=1
	s_add_co_i32 s20, s20, 0x10000
	s_delay_alu instid0(SALU_CYCLE_1)
	s_cmp_lt_u32 s20, s31
	s_cbranch_scc0 .LBB58_24
.LBB58_4:                               ; =>This Loop Header: Depth=1
                                        ;     Child Loop BB58_7 Depth 2
                                        ;       Child Loop BB58_10 Depth 3
	s_and_not1_b32 vcc_lo, exec_lo, s34
	s_wait_alu 0xfffe
	s_cbranch_vccnz .LBB58_3
; %bb.5:                                ;   in Loop: Header=BB58_4 Depth=1
	s_lshl_b64 s[0:1], s[20:21], 3
	s_wait_alu 0xfffe
	s_add_nc_u64 s[36:37], s[12:13], s[0:1]
	global_load_b64 v[6:7], v21, s[36:37]
	s_add_nc_u64 s[36:37], s[8:9], s[0:1]
	s_add_nc_u64 s[0:1], s[16:17], s[0:1]
	s_clause 0x1
	global_load_b64 v[8:9], v21, s[36:37]
	global_load_b64 v[10:11], v21, s[0:1]
	s_load_b32 s36, s[28:29], 0x4
	s_mov_b32 s37, s4
	s_wait_loadcnt 0x2
	v_add_co_u32 v25, vcc_lo, v6, s14
	s_wait_alu 0xfffd
	v_add_co_ci_u32_e64 v26, null, s15, v7, vcc_lo
	s_wait_loadcnt 0x1
	v_add_co_u32 v6, vcc_lo, v8, s10
	s_wait_alu 0xfffd
	v_add_co_ci_u32_e64 v7, null, s11, v9, vcc_lo
	;; [unrolled: 4-line block ×3, first 2 shown]
	v_add_co_u32 v27, vcc_lo, v6, v2
	s_wait_alu 0xfffd
	v_add_co_ci_u32_e64 v28, null, v7, v3, vcc_lo
	v_add_co_u32 v29, vcc_lo, v6, v4
	s_wait_alu 0xfffd
	v_add_co_ci_u32_e64 v30, null, v7, v5, vcc_lo
	;; [unrolled: 3-line block ×4, first 2 shown]
	s_branch .LBB58_7
.LBB58_6:                               ;   in Loop: Header=BB58_7 Depth=2
	s_wait_kmcnt 0x0
	s_add_co_i32 s37, s37, s36
	s_wait_alu 0xfffe
	s_cmp_gt_i32 s37, s33
	s_cbranch_scc1 .LBB58_3
.LBB58_7:                               ;   Parent Loop BB58_4 Depth=1
                                        ; =>  This Loop Header: Depth=2
                                        ;       Child Loop BB58_10 Depth 3
	s_and_not1_b32 vcc_lo, exec_lo, s35
	s_wait_alu 0xfffe
	s_cbranch_vccnz .LBB58_6
; %bb.8:                                ;   in Loop: Header=BB58_7 Depth=2
	v_lshl_add_u32 v12, s37, 5, v0
	s_mov_b32 s39, 0
	s_delay_alu instid0(VALU_DEP_1) | instskip(SKIP_3) | instid1(VALU_DEP_4)
	v_ashrrev_i32_e32 v13, 31, v12
	v_mul_lo_u32 v14, s25, v12
	v_mad_co_u64_u32 v[8:9], null, s24, v12, 0
	v_mul_lo_u32 v33, s27, v12
	v_mul_lo_u32 v15, s24, v13
	v_mad_co_u64_u32 v[10:11], null, s26, v12, 0
	v_mul_lo_u32 v13, s26, v13
	v_cmp_gt_i32_e32 vcc_lo, s6, v12
	s_delay_alu instid0(VALU_DEP_4) | instskip(SKIP_1) | instid1(VALU_DEP_3)
	v_add3_u32 v9, v9, v15, v14
	s_and_b32 s38, s3, vcc_lo
	v_add3_u32 v11, v11, v13, v33
	s_delay_alu instid0(VALU_DEP_2) | instskip(NEXT) | instid1(VALU_DEP_2)
	v_lshlrev_b64_e32 v[8:9], 3, v[8:9]
	v_lshlrev_b64_e32 v[10:11], 3, v[10:11]
	s_delay_alu instid0(VALU_DEP_2) | instskip(SKIP_1) | instid1(VALU_DEP_3)
	v_add_co_u32 v33, s0, v25, v8
	s_wait_alu 0xf1ff
	v_add_co_ci_u32_e64 v34, null, v26, v9, s0
	s_delay_alu instid0(VALU_DEP_3)
	v_add_co_u32 v8, s0, v31, v10
	s_wait_alu 0xf1ff
	v_add_co_ci_u32_e64 v9, null, v32, v11, s0
	s_branch .LBB58_10
.LBB58_9:                               ;   in Loop: Header=BB58_10 Depth=3
	s_wait_alu 0xfffe
	s_or_b32 exec_lo, exec_lo, s0
	s_add_co_i32 s39, s39, 32
	s_wait_storecnt 0x0
	s_wait_loadcnt_dscnt 0x0
	s_wait_alu 0xfffe
	s_cmp_ge_i32 s39, s5
	s_barrier_signal -1
	s_barrier_wait -1
	global_inv scope:SCOPE_SE
	s_cbranch_scc1 .LBB58_6
.LBB58_10:                              ;   Parent Loop BB58_4 Depth=1
                                        ;     Parent Loop BB58_7 Depth=2
                                        ; =>    This Inner Loop Header: Depth=3
	s_wait_alu 0xfffe
	v_add_nc_u32_e32 v11, s39, v0
	s_mov_b32 s40, exec_lo
	s_delay_alu instid0(VALU_DEP_1) | instskip(SKIP_1) | instid1(VALU_DEP_1)
	v_cndmask_b32_e64 v13, v11, v1, s2
	v_cndmask_b32_e64 v14, v1, v11, s2
	v_cmp_gt_i32_e64 s0, v13, v14
	s_wait_alu 0xf1ff
	s_delay_alu instid0(VALU_DEP_1) | instskip(SKIP_3) | instid1(VALU_DEP_3)
	v_cndmask_b32_e64 v10, v1, v11, s0
	v_cndmask_b32_e64 v12, v11, v1, s0
	v_cmp_le_i32_e64 s0, v13, v14
	v_mov_b32_e32 v13, 0
	v_max_i32_e32 v15, v10, v12
	v_mov_b32_e32 v10, 0
	v_mov_b32_e32 v12, 0
	s_delay_alu instid0(VALU_DEP_3)
	v_cmpx_gt_i32_e64 s5, v15
	s_cbranch_execz .LBB58_20
; %bb.11:                               ;   in Loop: Header=BB58_10 Depth=3
                                        ; implicit-def: $vgpr13
	s_and_saveexec_b32 s1, s0
	s_wait_alu 0xfffe
	s_xor_b32 s1, exec_lo, s1
	s_cbranch_execz .LBB58_17
; %bb.12:                               ;   in Loop: Header=BB58_10 Depth=3
	s_mov_b32 s41, exec_lo
                                        ; implicit-def: $vgpr13
	v_cmpx_ne_u32_e64 v11, v1
	s_xor_b32 s41, exec_lo, s41
	s_cbranch_execz .LBB58_14
; %bb.13:                               ;   in Loop: Header=BB58_10 Depth=3
	v_ashrrev_i32_e32 v13, 31, v11
	v_mul_lo_u32 v14, s23, v11
	v_mad_co_u64_u32 v[11:12], null, s22, v11, 0
	s_delay_alu instid0(VALU_DEP_3) | instskip(NEXT) | instid1(VALU_DEP_1)
	v_mul_lo_u32 v13, s22, v13
	v_add3_u32 v12, v12, v13, v14
	s_delay_alu instid0(VALU_DEP_1) | instskip(NEXT) | instid1(VALU_DEP_1)
	v_lshlrev_b64_e32 v[11:12], 3, v[11:12]
	v_add_co_u32 v11, s0, v27, v11
	s_wait_alu 0xf1ff
	s_delay_alu instid0(VALU_DEP_2)
	v_add_co_ci_u32_e64 v12, null, v28, v12, s0
	flat_load_b64 v[12:13], v[11:12]
.LBB58_14:                              ;   in Loop: Header=BB58_10 Depth=3
	s_and_not1_saveexec_b32 s0, s41
	s_cbranch_execz .LBB58_16
; %bb.15:                               ;   in Loop: Header=BB58_10 Depth=3
	s_wait_loadcnt_dscnt 0x0
	flat_load_b32 v12, v[6:7]
	v_mov_b32_e32 v13, 0
.LBB58_16:                              ;   in Loop: Header=BB58_10 Depth=3
	s_wait_alu 0xfffe
	s_or_b32 exec_lo, exec_lo, s0
                                        ; implicit-def: $vgpr11
.LBB58_17:                              ;   in Loop: Header=BB58_10 Depth=3
	s_wait_alu 0xfffe
	s_and_not1_saveexec_b32 s1, s1
	s_cbranch_execz .LBB58_19
; %bb.18:                               ;   in Loop: Header=BB58_10 Depth=3
	s_wait_loadcnt_dscnt 0x0
	v_ashrrev_i32_e32 v12, 31, v11
	s_delay_alu instid0(VALU_DEP_1) | instskip(NEXT) | instid1(VALU_DEP_1)
	v_lshlrev_b64_e32 v[11:12], 3, v[11:12]
	v_add_co_u32 v11, s0, v29, v11
	s_wait_alu 0xf1ff
	s_delay_alu instid0(VALU_DEP_2)
	v_add_co_ci_u32_e64 v12, null, v30, v12, s0
	flat_load_b64 v[12:13], v[11:12]
	s_wait_loadcnt_dscnt 0x0
	v_xor_b32_e32 v13, 0x80000000, v13
.LBB58_19:                              ;   in Loop: Header=BB58_10 Depth=3
	s_wait_alu 0xfffe
	s_or_b32 exec_lo, exec_lo, s1
.LBB58_20:                              ;   in Loop: Header=BB58_10 Depth=3
	s_delay_alu instid0(SALU_CYCLE_1)
	s_or_b32 exec_lo, exec_lo, s40
	v_dual_mov_b32 v11, 0 :: v_dual_add_nc_u32 v14, s39, v16
	s_wait_loadcnt_dscnt 0x0
	ds_store_b64 v19, v[12:13]
	v_cmp_gt_i32_e64 s0, s5, v14
	s_and_b32 s0, s0, vcc_lo
	s_wait_alu 0xfffe
	s_and_saveexec_b32 s1, s0
	s_cbranch_execz .LBB58_22
; %bb.21:                               ;   in Loop: Header=BB58_10 Depth=3
	v_ashrrev_i32_e32 v15, 31, v14
	s_delay_alu instid0(VALU_DEP_1) | instskip(NEXT) | instid1(VALU_DEP_1)
	v_lshlrev_b64_e32 v[10:11], 3, v[14:15]
	v_add_co_u32 v10, s0, v33, v10
	s_wait_alu 0xf1ff
	s_delay_alu instid0(VALU_DEP_2)
	v_add_co_ci_u32_e64 v11, null, v34, v11, s0
	flat_load_b64 v[10:11], v[10:11]
.LBB58_22:                              ;   in Loop: Header=BB58_10 Depth=3
	s_wait_alu 0xfffe
	s_or_b32 exec_lo, exec_lo, s1
	s_wait_loadcnt_dscnt 0x0
	ds_store_b64 v20, v[10:11]
	s_wait_dscnt 0x0
	s_barrier_signal -1
	s_barrier_wait -1
	global_inv scope:SCOPE_SE
	s_and_saveexec_b32 s0, s38
	s_cbranch_execz .LBB58_9
; %bb.23:                               ;   in Loop: Header=BB58_10 Depth=3
	flat_load_b64 v[10:11], v[8:9]
	ds_load_2addr_b64 v[12:15], v18 offset1:32
	ds_load_b128 v[35:38], v17
	ds_load_b128 v[39:42], v17 offset:16
	ds_load_b128 v[43:46], v17 offset:32
	;; [unrolled: 1-line block ×3, first 2 shown]
	ds_load_2addr_b64 v[51:54], v18 offset0:64 offset1:96
	ds_load_2addr_b64 v[55:58], v18 offset0:128 offset1:160
	ds_load_2addr_b64 v[59:62], v18 offset0:192 offset1:224
	ds_load_2addr_b64 v[63:66], v22 offset1:32
	ds_load_b128 v[67:70], v17 offset:64
	ds_load_b128 v[71:74], v17 offset:80
	ds_load_2addr_b64 v[75:78], v22 offset0:64 offset1:96
	ds_load_2addr_b64 v[79:82], v22 offset0:128 offset1:160
	ds_load_b128 v[83:86], v17 offset:96
	ds_load_b128 v[87:90], v17 offset:112
	ds_load_2addr_b64 v[91:94], v22 offset0:192 offset1:224
	ds_load_2addr_b64 v[95:98], v23 offset1:32
	ds_load_b128 v[99:102], v17 offset:128
	ds_load_b128 v[103:106], v17 offset:144
	ds_load_2addr_b64 v[107:110], v23 offset0:64 offset1:96
	ds_load_2addr_b64 v[111:114], v23 offset0:128 offset1:160
	ds_load_b128 v[115:118], v17 offset:160
	ds_load_b128 v[119:122], v17 offset:176
	ds_load_2addr_b64 v[123:126], v23 offset0:192 offset1:224
	ds_load_2addr_b64 v[127:130], v24 offset1:32
	s_wait_dscnt 0x17
	v_dual_mul_f32 v132, v12, v36 :: v_dual_mul_f32 v133, v14, v38
	v_dual_mul_f32 v131, v13, v36 :: v_dual_mul_f32 v36, v15, v38
	s_wait_dscnt 0x13
	v_mul_f32_e32 v38, v52, v40
	s_wait_dscnt 0x12
	v_dual_fmac_f32 v132, v13, v35 :: v_dual_mul_f32 v137, v55, v44
	v_mul_f32_e32 v134, v51, v40
	v_mul_f32_e32 v40, v54, v42
	s_wait_dscnt 0x11
	v_dual_mul_f32 v136, v53, v42 :: v_dual_mul_f32 v143, v59, v48
	v_mul_f32_e32 v42, v56, v44
	v_dual_mul_f32 v44, v58, v46 :: v_dual_fmac_f32 v133, v15, v37
	v_fma_f32 v139, v51, v39, -v38
	s_delay_alu instid0(VALU_DEP_4) | instskip(NEXT) | instid1(VALU_DEP_3)
	v_dual_fmac_f32 v143, v60, v47 :: v_dual_mul_f32 v138, v57, v46
	v_fma_f32 v142, v57, v45, -v44
	v_mul_f32_e32 v44, v62, v50
	v_fma_f32 v141, v55, v43, -v42
	v_fmac_f32_e32 v137, v56, v43
	v_dual_mul_f32 v43, v60, v48 :: v_dual_mul_f32 v144, v61, v50
	s_wait_dscnt 0xf
	v_mul_f32_e32 v48, v64, v68
	v_fma_f32 v60, v61, v49, -v44
	v_mul_f32_e32 v61, v63, v68
	v_fma_f32 v131, v12, v35, -v131
	v_fma_f32 v140, v53, v41, -v40
	v_fmac_f32_e32 v136, v54, v41
	v_fma_f32 v59, v59, v47, -v43
	v_mul_f32_e32 v47, v66, v70
	v_fma_f32 v63, v63, v67, -v48
	v_fmac_f32_e32 v61, v64, v67
	s_wait_dscnt 0xd
	v_dual_mul_f32 v67, v76, v72 :: v_dual_fmac_f32 v144, v62, v49
	v_mul_f32_e32 v62, v65, v70
	v_mul_f32_e32 v68, v75, v72
	v_fma_f32 v135, v14, v37, -v36
	v_add_f32_e32 v48, 0, v131
	v_fma_f32 v64, v65, v69, -v47
	v_mul_f32_e32 v70, v77, v74
	v_fma_f32 v67, v75, v71, -v67
	s_wait_dscnt 0xb
	v_dual_fmac_f32 v68, v76, v71 :: v_dual_mul_f32 v71, v79, v84
	s_wait_dscnt 0x9
	v_dual_fmac_f32 v62, v66, v69 :: v_dual_mul_f32 v75, v92, v88
	v_mul_f32_e32 v69, v78, v74
	v_fmac_f32_e32 v70, v78, v73
	v_dual_fmac_f32 v134, v52, v39 :: v_dual_add_f32 v49, 0, v132
	ds_load_b128 v[12:15], v17 offset:192
	ds_load_b128 v[35:38], v17 offset:208
	v_fma_f32 v69, v77, v73, -v69
	v_mul_f32_e32 v73, v82, v86
	v_dual_fmac_f32 v138, v58, v45 :: v_dual_add_f32 v65, v48, v135
	v_dual_add_f32 v66, v49, v133 :: v_dual_mul_f32 v77, v94, v90
	ds_load_2addr_b64 v[39:42], v24 offset0:64 offset1:96
	ds_load_2addr_b64 v[43:46], v24 offset0:128 offset1:160
	v_add_f32_e32 v65, v65, v139
	ds_load_b128 v[47:50], v17 offset:224
	ds_load_b128 v[51:54], v17 offset:240
	ds_load_2addr_b64 v[55:58], v24 offset0:192 offset1:224
	v_fmac_f32_e32 v71, v80, v83
	v_dual_add_f32 v65, v65, v140 :: v_dual_add_f32 v66, v66, v134
	s_delay_alu instid0(VALU_DEP_1) | instskip(NEXT) | instid1(VALU_DEP_1)
	v_add_f32_e32 v65, v65, v141
	v_dual_add_f32 v65, v65, v142 :: v_dual_add_f32 v66, v66, v136
	s_delay_alu instid0(VALU_DEP_1) | instskip(SKIP_2) | instid1(VALU_DEP_2)
	v_dual_add_f32 v59, v65, v59 :: v_dual_add_f32 v66, v66, v137
	s_wait_dscnt 0xe
	v_mul_f32_e32 v65, v95, v100
	v_add_f32_e32 v59, v59, v60
	s_wait_dscnt 0xc
	v_mul_f32_e32 v60, v108, v104
	s_delay_alu instid0(VALU_DEP_3) | instskip(NEXT) | instid1(VALU_DEP_3)
	v_fmac_f32_e32 v65, v96, v99
	v_add_f32_e32 v59, v59, v63
	v_mul_f32_e32 v63, v109, v106
	v_add_f32_e32 v66, v66, v138
	v_mul_f32_e32 v74, v81, v86
	s_delay_alu instid0(VALU_DEP_4) | instskip(SKIP_1) | instid1(VALU_DEP_4)
	v_dual_mul_f32 v86, v98, v102 :: v_dual_add_f32 v59, v59, v64
	v_mul_f32_e32 v78, v93, v90
	v_add_f32_e32 v66, v66, v143
	v_fmac_f32_e32 v63, v110, v105
	s_delay_alu instid0(VALU_DEP_4)
	v_add_f32_e32 v59, v59, v67
	s_wait_dscnt 0x8
	v_mul_f32_e32 v67, v123, v120
	v_add_f32_e32 v66, v66, v144
	v_mul_f32_e32 v72, v80, v84
	v_fmac_f32_e32 v78, v94, v89
	v_add_f32_e32 v59, v59, v69
	v_mul_f32_e32 v69, v126, v122
	v_dual_add_f32 v61, v66, v61 :: v_dual_mul_f32 v76, v91, v88
	v_mul_f32_e32 v88, v97, v102
	v_mul_f32_e32 v102, v111, v116
	v_fma_f32 v60, v107, v103, -v60
	s_delay_alu instid0(VALU_DEP_4) | instskip(NEXT) | instid1(VALU_DEP_4)
	v_dual_add_f32 v61, v61, v62 :: v_dual_fmac_f32 v76, v92, v87
	v_fmac_f32_e32 v88, v98, v101
	s_delay_alu instid0(VALU_DEP_2)
	v_dual_fmac_f32 v102, v112, v115 :: v_dual_add_f32 v61, v61, v68
	v_fma_f32 v68, v79, v83, -v72
	v_mul_f32_e32 v84, v96, v100
	v_mul_f32_e32 v100, v110, v106
	v_fma_f32 v72, v93, v89, -v77
	v_add_f32_e32 v61, v61, v70
	v_fma_f32 v70, v81, v85, -v73
	v_add_f32_e32 v59, v59, v68
	v_mul_f32_e32 v66, v112, v116
	v_fma_f32 v73, v97, v101, -v86
	v_add_f32_e32 v61, v61, v71
	v_fma_f32 v71, v91, v87, -v75
	v_add_f32_e32 v59, v59, v70
	s_delay_alu instid0(VALU_DEP_1) | instskip(SKIP_2) | instid1(VALU_DEP_3)
	v_dual_mul_f32 v64, v113, v118 :: v_dual_add_f32 v59, v59, v71
	v_mul_f32_e32 v68, v125, v122
	v_fma_f32 v71, v95, v99, -v84
	v_dual_fmac_f32 v64, v114, v117 :: v_dual_add_f32 v59, v59, v72
	s_wait_dscnt 0x6
	v_mul_f32_e32 v72, v130, v15
	v_dual_mul_f32 v15, v129, v15 :: v_dual_fmac_f32 v74, v82, v85
	v_mul_f32_e32 v90, v107, v104
	v_dual_mul_f32 v70, v128, v13 :: v_dual_add_f32 v59, v59, v71
	v_fma_f32 v71, v109, v105, -v100
	s_delay_alu instid0(VALU_DEP_4) | instskip(SKIP_1) | instid1(VALU_DEP_4)
	v_add_f32_e32 v61, v61, v74
	v_mul_f32_e32 v62, v114, v118
	v_dual_fmac_f32 v90, v108, v103 :: v_dual_add_f32 v59, v59, v73
	v_dual_mul_f32 v104, v124, v120 :: v_dual_mul_f32 v13, v127, v13
	s_delay_alu instid0(VALU_DEP_4) | instskip(NEXT) | instid1(VALU_DEP_4)
	v_add_f32_e32 v61, v61, v76
	v_fma_f32 v62, v113, v117, -v62
	s_delay_alu instid0(VALU_DEP_4)
	v_add_f32_e32 v59, v59, v60
	v_fma_f32 v60, v111, v115, -v66
	v_fmac_f32_e32 v13, v128, v12
	v_add_f32_e32 v61, v61, v78
	v_fmac_f32_e32 v15, v130, v14
	v_dual_add_f32 v59, v59, v71 :: v_dual_fmac_f32 v68, v126, v121
	v_fmac_f32_e32 v67, v124, v119
	s_delay_alu instid0(VALU_DEP_4) | instskip(SKIP_3) | instid1(VALU_DEP_3)
	v_add_f32_e32 v61, v61, v65
	s_wait_dscnt 0x4
	v_mul_f32_e32 v65, v40, v36
	v_mul_f32_e32 v36, v39, v36
	v_add_f32_e32 v61, v61, v88
	s_delay_alu instid0(VALU_DEP_3) | instskip(NEXT) | instid1(VALU_DEP_2)
	v_fma_f32 v39, v39, v35, -v65
	v_dual_fmac_f32 v36, v40, v35 :: v_dual_add_f32 v61, v61, v90
	s_delay_alu instid0(VALU_DEP_1) | instskip(SKIP_3) | instid1(VALU_DEP_2)
	v_add_f32_e32 v61, v61, v63
	v_mul_f32_e32 v63, v42, v38
	v_dual_mul_f32 v38, v41, v38 :: v_dual_add_f32 v59, v59, v60
	v_fma_f32 v60, v123, v119, -v104
	v_dual_fmac_f32 v38, v42, v37 :: v_dual_add_f32 v59, v59, v62
	s_wait_dscnt 0x2
	v_dual_mul_f32 v62, v44, v48 :: v_dual_add_f32 v61, v61, v102
	v_mul_f32_e32 v48, v43, v48
	v_fma_f32 v35, v41, v37, -v63
	v_add_f32_e32 v59, v59, v60
	v_fma_f32 v60, v127, v12, -v70
	v_add_f32_e32 v61, v61, v64
	v_fma_f32 v64, v125, v121, -v69
	v_fmac_f32_e32 v48, v44, v47
	v_fma_f32 v37, v43, v47, -v62
	s_delay_alu instid0(VALU_DEP_4) | instskip(NEXT) | instid1(VALU_DEP_4)
	v_add_f32_e32 v61, v61, v67
	v_add_f32_e32 v59, v59, v64
	v_fma_f32 v64, v129, v14, -v72
	v_mul_f32_e32 v14, v45, v50
	s_delay_alu instid0(VALU_DEP_4) | instskip(NEXT) | instid1(VALU_DEP_2)
	v_add_f32_e32 v12, v61, v68
	v_fmac_f32_e32 v14, v46, v49
	s_delay_alu instid0(VALU_DEP_2) | instskip(NEXT) | instid1(VALU_DEP_1)
	v_add_f32_e32 v12, v12, v13
	v_dual_add_f32 v12, v12, v15 :: v_dual_mul_f32 v61, v46, v50
	s_wait_dscnt 0x0
	v_mul_f32_e32 v15, v56, v52
	s_delay_alu instid0(VALU_DEP_2) | instskip(SKIP_2) | instid1(VALU_DEP_4)
	v_add_f32_e32 v12, v12, v36
	v_add_f32_e32 v13, v59, v60
	v_mul_f32_e32 v36, v55, v52
	v_fma_f32 v15, v55, v51, -v15
	s_delay_alu instid0(VALU_DEP_3) | instskip(NEXT) | instid1(VALU_DEP_3)
	v_dual_add_f32 v12, v12, v38 :: v_dual_add_f32 v13, v13, v64
	v_fmac_f32_e32 v36, v56, v51
	v_fma_f32 v38, v45, v49, -v61
	s_delay_alu instid0(VALU_DEP_3) | instskip(NEXT) | instid1(VALU_DEP_1)
	v_dual_add_f32 v12, v12, v48 :: v_dual_add_f32 v13, v13, v39
	v_dual_add_f32 v12, v12, v14 :: v_dual_add_f32 v13, v13, v35
	s_delay_alu instid0(VALU_DEP_1) | instskip(NEXT) | instid1(VALU_DEP_2)
	v_dual_mul_f32 v35, v58, v54 :: v_dual_add_f32 v12, v12, v36
	v_add_f32_e32 v13, v13, v37
	v_mul_f32_e32 v37, v57, v54
	s_delay_alu instid0(VALU_DEP_3) | instskip(NEXT) | instid1(VALU_DEP_2)
	v_fma_f32 v14, v57, v53, -v35
	v_fmac_f32_e32 v37, v58, v53
	s_delay_alu instid0(VALU_DEP_1) | instskip(NEXT) | instid1(VALU_DEP_1)
	v_dual_add_f32 v13, v13, v38 :: v_dual_add_f32 v12, v12, v37
	v_add_f32_e32 v13, v13, v15
	s_delay_alu instid0(VALU_DEP_1) | instskip(NEXT) | instid1(VALU_DEP_1)
	v_dual_add_f32 v13, v13, v14 :: v_dual_mul_f32 v14, s30, v12
	v_mul_f32_e32 v15, s30, v13
	s_delay_alu instid0(VALU_DEP_2) | instskip(SKIP_1) | instid1(VALU_DEP_1)
	v_fma_f32 v13, s7, v13, -v14
	s_wait_loadcnt 0x0
	v_dual_fmac_f32 v15, s7, v12 :: v_dual_add_f32 v10, v10, v13
	s_delay_alu instid0(VALU_DEP_1)
	v_add_f32_e32 v11, v11, v15
	flat_store_b64 v[8:9], v[10:11]
	s_branch .LBB58_9
.LBB58_24:
	s_endpgm
	.section	.rodata,"a",@progbits
	.p2align	6, 0x0
	.amdhsa_kernel _ZL24rocblas_symm_hemm_kernelILb1ELb0ELi32E19rocblas_complex_numIfEPKPKS1_PKPS1_EvbiiT2_T3_lllSA_lllT4_llli
		.amdhsa_group_segment_fixed_size 16384
		.amdhsa_private_segment_fixed_size 0
		.amdhsa_kernarg_size 384
		.amdhsa_user_sgpr_count 2
		.amdhsa_user_sgpr_dispatch_ptr 0
		.amdhsa_user_sgpr_queue_ptr 0
		.amdhsa_user_sgpr_kernarg_segment_ptr 1
		.amdhsa_user_sgpr_dispatch_id 0
		.amdhsa_user_sgpr_private_segment_size 0
		.amdhsa_wavefront_size32 1
		.amdhsa_uses_dynamic_stack 0
		.amdhsa_enable_private_segment 0
		.amdhsa_system_sgpr_workgroup_id_x 1
		.amdhsa_system_sgpr_workgroup_id_y 1
		.amdhsa_system_sgpr_workgroup_id_z 1
		.amdhsa_system_sgpr_workgroup_info 0
		.amdhsa_system_vgpr_workitem_id 1
		.amdhsa_next_free_vgpr 145
		.amdhsa_next_free_sgpr 42
		.amdhsa_reserve_vcc 1
		.amdhsa_float_round_mode_32 0
		.amdhsa_float_round_mode_16_64 0
		.amdhsa_float_denorm_mode_32 3
		.amdhsa_float_denorm_mode_16_64 3
		.amdhsa_fp16_overflow 0
		.amdhsa_workgroup_processor_mode 1
		.amdhsa_memory_ordered 1
		.amdhsa_forward_progress 1
		.amdhsa_inst_pref_size 22
		.amdhsa_round_robin_scheduling 0
		.amdhsa_exception_fp_ieee_invalid_op 0
		.amdhsa_exception_fp_denorm_src 0
		.amdhsa_exception_fp_ieee_div_zero 0
		.amdhsa_exception_fp_ieee_overflow 0
		.amdhsa_exception_fp_ieee_underflow 0
		.amdhsa_exception_fp_ieee_inexact 0
		.amdhsa_exception_int_div_zero 0
	.end_amdhsa_kernel
	.section	.text._ZL24rocblas_symm_hemm_kernelILb1ELb0ELi32E19rocblas_complex_numIfEPKPKS1_PKPS1_EvbiiT2_T3_lllSA_lllT4_llli,"axG",@progbits,_ZL24rocblas_symm_hemm_kernelILb1ELb0ELi32E19rocblas_complex_numIfEPKPKS1_PKPS1_EvbiiT2_T3_lllSA_lllT4_llli,comdat
.Lfunc_end58:
	.size	_ZL24rocblas_symm_hemm_kernelILb1ELb0ELi32E19rocblas_complex_numIfEPKPKS1_PKPS1_EvbiiT2_T3_lllSA_lllT4_llli, .Lfunc_end58-_ZL24rocblas_symm_hemm_kernelILb1ELb0ELi32E19rocblas_complex_numIfEPKPKS1_PKPS1_EvbiiT2_T3_lllSA_lllT4_llli
                                        ; -- End function
	.set _ZL24rocblas_symm_hemm_kernelILb1ELb0ELi32E19rocblas_complex_numIfEPKPKS1_PKPS1_EvbiiT2_T3_lllSA_lllT4_llli.num_vgpr, 145
	.set _ZL24rocblas_symm_hemm_kernelILb1ELb0ELi32E19rocblas_complex_numIfEPKPKS1_PKPS1_EvbiiT2_T3_lllSA_lllT4_llli.num_agpr, 0
	.set _ZL24rocblas_symm_hemm_kernelILb1ELb0ELi32E19rocblas_complex_numIfEPKPKS1_PKPS1_EvbiiT2_T3_lllSA_lllT4_llli.numbered_sgpr, 42
	.set _ZL24rocblas_symm_hemm_kernelILb1ELb0ELi32E19rocblas_complex_numIfEPKPKS1_PKPS1_EvbiiT2_T3_lllSA_lllT4_llli.num_named_barrier, 0
	.set _ZL24rocblas_symm_hemm_kernelILb1ELb0ELi32E19rocblas_complex_numIfEPKPKS1_PKPS1_EvbiiT2_T3_lllSA_lllT4_llli.private_seg_size, 0
	.set _ZL24rocblas_symm_hemm_kernelILb1ELb0ELi32E19rocblas_complex_numIfEPKPKS1_PKPS1_EvbiiT2_T3_lllSA_lllT4_llli.uses_vcc, 1
	.set _ZL24rocblas_symm_hemm_kernelILb1ELb0ELi32E19rocblas_complex_numIfEPKPKS1_PKPS1_EvbiiT2_T3_lllSA_lllT4_llli.uses_flat_scratch, 0
	.set _ZL24rocblas_symm_hemm_kernelILb1ELb0ELi32E19rocblas_complex_numIfEPKPKS1_PKPS1_EvbiiT2_T3_lllSA_lllT4_llli.has_dyn_sized_stack, 0
	.set _ZL24rocblas_symm_hemm_kernelILb1ELb0ELi32E19rocblas_complex_numIfEPKPKS1_PKPS1_EvbiiT2_T3_lllSA_lllT4_llli.has_recursion, 0
	.set _ZL24rocblas_symm_hemm_kernelILb1ELb0ELi32E19rocblas_complex_numIfEPKPKS1_PKPS1_EvbiiT2_T3_lllSA_lllT4_llli.has_indirect_call, 0
	.section	.AMDGPU.csdata,"",@progbits
; Kernel info:
; codeLenInByte = 2732
; TotalNumSgprs: 44
; NumVgprs: 145
; ScratchSize: 0
; MemoryBound: 0
; FloatMode: 240
; IeeeMode: 1
; LDSByteSize: 16384 bytes/workgroup (compile time only)
; SGPRBlocks: 0
; VGPRBlocks: 18
; NumSGPRsForWavesPerEU: 44
; NumVGPRsForWavesPerEU: 145
; Occupancy: 9
; WaveLimiterHint : 1
; COMPUTE_PGM_RSRC2:SCRATCH_EN: 0
; COMPUTE_PGM_RSRC2:USER_SGPR: 2
; COMPUTE_PGM_RSRC2:TRAP_HANDLER: 0
; COMPUTE_PGM_RSRC2:TGID_X_EN: 1
; COMPUTE_PGM_RSRC2:TGID_Y_EN: 1
; COMPUTE_PGM_RSRC2:TGID_Z_EN: 1
; COMPUTE_PGM_RSRC2:TIDIG_COMP_CNT: 1
	.section	.text._ZL24rocblas_symm_hemm_kernelILb1ELb1ELi32E19rocblas_complex_numIfEPKPKS1_PKPS1_EvbiiT2_T3_lllSA_lllT4_llli,"axG",@progbits,_ZL24rocblas_symm_hemm_kernelILb1ELb1ELi32E19rocblas_complex_numIfEPKPKS1_PKPS1_EvbiiT2_T3_lllSA_lllT4_llli,comdat
	.globl	_ZL24rocblas_symm_hemm_kernelILb1ELb1ELi32E19rocblas_complex_numIfEPKPKS1_PKPS1_EvbiiT2_T3_lllSA_lllT4_llli ; -- Begin function _ZL24rocblas_symm_hemm_kernelILb1ELb1ELi32E19rocblas_complex_numIfEPKPKS1_PKPS1_EvbiiT2_T3_lllSA_lllT4_llli
	.p2align	8
	.type	_ZL24rocblas_symm_hemm_kernelILb1ELb1ELi32E19rocblas_complex_numIfEPKPKS1_PKPS1_EvbiiT2_T3_lllSA_lllT4_llli,@function
_ZL24rocblas_symm_hemm_kernelILb1ELb1ELi32E19rocblas_complex_numIfEPKPKS1_PKPS1_EvbiiT2_T3_lllSA_lllT4_llli: ; @_ZL24rocblas_symm_hemm_kernelILb1ELb1ELi32E19rocblas_complex_numIfEPKPKS1_PKPS1_EvbiiT2_T3_lllSA_lllT4_llli
; %bb.0:
	s_clause 0x1
	s_load_b128 s[4:7], s[0:1], 0x0
	s_load_b32 s28, s[0:1], 0x10
	s_wait_kmcnt 0x0
	s_cmp_eq_f32 s7, 0
	s_cselect_b32 s2, -1, 0
	s_cmp_eq_f32 s28, 0
	s_cselect_b32 s3, -1, 0
	s_delay_alu instid0(SALU_CYCLE_1) | instskip(NEXT) | instid1(SALU_CYCLE_1)
	s_and_b32 s2, s2, s3
	s_and_b32 vcc_lo, exec_lo, s2
	s_cbranch_vccnz .LBB59_24
; %bb.1:
	s_load_b32 s29, s[0:1], 0x78
	s_lshr_b32 s20, ttmp7, 16
	s_wait_kmcnt 0x0
	s_cmp_ge_u32 s20, s29
	s_cbranch_scc1 .LBB59_24
; %bb.2:
	s_clause 0x5
	s_load_b128 s[8:11], s[0:1], 0x18
	s_load_b64 s[22:23], s[0:1], 0x28
	s_load_b128 s[12:15], s[0:1], 0x38
	s_load_b64 s[24:25], s[0:1], 0x48
	s_load_b64 s[26:27], s[0:1], 0x68
	s_load_b128 s[16:19], s[0:1], 0x58
	v_and_b32_e32 v13, 0x3ff, v0
	v_bfe_u32 v12, v0, 10, 10
	s_bitcmp1_b32 s4, 0
	v_mov_b32_e32 v19, 0
	s_cselect_b32 s2, -1, 0
	s_add_co_i32 s3, s6, -1
	v_lshl_add_u32 v0, ttmp9, 5, v13
	v_lshlrev_b32_e32 v2, 3, v12
	s_ashr_i32 s4, s3, 31
	s_and_b32 s30, ttmp7, 0xffff
	s_lshr_b32 s4, s4, 27
	v_ashrrev_i32_e32 v1, 31, v0
	s_add_co_i32 s3, s3, s4
	v_lshlrev_b32_e32 v14, 8, v13
	v_or_b32_e32 v15, 0x2000, v2
	v_lshl_add_u32 v3, s30, 5, v12
	s_ashr_i32 s31, s3, 5
	v_cmp_gt_i32_e64 s3, s5, v0
	s_wait_alu 0xfffe
	s_cmp_le_i32 s30, s31
	v_lshlrev_b64_e32 v[0:1], 3, v[0:1]
	v_add_nc_u32_e32 v16, v14, v2
	v_add_nc_u32_e32 v17, v15, v14
	v_sub_nc_u32_e32 v18, 0, v3
	v_add_nc_u32_e32 v20, 0x800, v15
	v_add_nc_u32_e32 v21, 0x1000, v15
	;; [unrolled: 1-line block ×3, first 2 shown]
	s_cselect_b32 s33, -1, 0
	s_cmp_gt_i32 s6, 0
	s_mov_b32 s21, 0
	s_add_nc_u64 s[4:5], s[0:1], 0x80
	s_cselect_b32 s1, -1, 0
	s_wait_kmcnt 0x0
	s_lshl_b64 s[10:11], s[10:11], 3
	s_lshl_b64 s[18:19], s[18:19], 3
	;; [unrolled: 1-line block ×3, first 2 shown]
	s_branch .LBB59_4
.LBB59_3:                               ;   in Loop: Header=BB59_4 Depth=1
	s_add_co_i32 s20, s20, 0x10000
	s_delay_alu instid0(SALU_CYCLE_1)
	s_cmp_lt_u32 s20, s29
	s_cbranch_scc0 .LBB59_24
.LBB59_4:                               ; =>This Loop Header: Depth=1
                                        ;     Child Loop BB59_7 Depth 2
                                        ;       Child Loop BB59_10 Depth 3
	s_and_not1_b32 vcc_lo, exec_lo, s33
	s_wait_alu 0xfffe
	s_cbranch_vccnz .LBB59_3
; %bb.5:                                ;   in Loop: Header=BB59_4 Depth=1
	s_lshl_b64 s[34:35], s[20:21], 3
	v_mov_b32_e32 v29, v18
	s_wait_alu 0xfffe
	s_add_nc_u64 s[36:37], s[8:9], s[34:35]
	global_load_b64 v[2:3], v19, s[36:37]
	s_add_nc_u64 s[36:37], s[12:13], s[34:35]
	s_add_nc_u64 s[34:35], s[16:17], s[34:35]
	s_clause 0x1
	global_load_b64 v[4:5], v19, s[36:37]
	global_load_b64 v[6:7], v19, s[34:35]
	s_load_b32 s34, s[4:5], 0x4
	s_mov_b32 s36, s30
	s_wait_kmcnt 0x0
	s_lshl_b32 s35, s34, 5
	s_wait_loadcnt 0x2
	v_add_co_u32 v23, vcc_lo, v2, s10
	s_wait_alu 0xfffd
	v_add_co_ci_u32_e64 v24, null, s11, v3, vcc_lo
	s_wait_loadcnt 0x1
	v_add_co_u32 v2, vcc_lo, v4, s14
	s_wait_alu 0xfffd
	v_add_co_ci_u32_e64 v3, null, s15, v5, vcc_lo
	;; [unrolled: 4-line block ×3, first 2 shown]
	v_add_co_u32 v25, vcc_lo, v2, v0
	s_wait_alu 0xfffd
	v_add_co_ci_u32_e64 v26, null, v3, v1, vcc_lo
	v_add_co_u32 v27, vcc_lo, v4, v0
	s_wait_alu 0xfffd
	v_add_co_ci_u32_e64 v28, null, v5, v1, vcc_lo
	s_branch .LBB59_7
.LBB59_6:                               ;   in Loop: Header=BB59_7 Depth=2
	v_subrev_nc_u32_e32 v29, s35, v29
	s_add_co_i32 s36, s36, s34
	s_wait_alu 0xfffe
	s_cmp_gt_i32 s36, s31
	s_cbranch_scc1 .LBB59_3
.LBB59_7:                               ;   Parent Loop BB59_4 Depth=1
                                        ; =>  This Loop Header: Depth=2
                                        ;       Child Loop BB59_10 Depth 3
	s_and_not1_b32 vcc_lo, exec_lo, s1
	s_wait_alu 0xfffe
	s_cbranch_vccnz .LBB59_6
; %bb.8:                                ;   in Loop: Header=BB59_7 Depth=2
	v_lshl_add_u32 v2, s36, 5, v12
	v_add_nc_u32_e32 v34, v13, v29
	s_mov_b32 s38, 0
	s_delay_alu instid0(VALU_DEP_2) | instskip(SKIP_3) | instid1(VALU_DEP_4)
	v_ashrrev_i32_e32 v3, 31, v2
	v_mul_lo_u32 v8, s23, v2
	v_mad_co_u64_u32 v[4:5], null, s22, v2, 0
	v_mul_lo_u32 v10, s27, v2
	v_mul_lo_u32 v9, s22, v3
	v_mad_co_u64_u32 v[6:7], null, s26, v2, 0
	v_mul_lo_u32 v11, s26, v3
	v_cmp_gt_i32_e32 vcc_lo, s6, v2
	s_delay_alu instid0(VALU_DEP_4) | instskip(SKIP_2) | instid1(VALU_DEP_4)
	v_add3_u32 v5, v5, v9, v8
	v_lshlrev_b64_e32 v[8:9], 3, v[2:3]
	s_and_b32 s37, s3, vcc_lo
	v_add3_u32 v7, v7, v11, v10
	s_delay_alu instid0(VALU_DEP_3) | instskip(NEXT) | instid1(VALU_DEP_3)
	v_lshlrev_b64_e32 v[3:4], 3, v[4:5]
	v_add_co_u32 v30, s0, v23, v8
	s_delay_alu instid0(VALU_DEP_3) | instskip(SKIP_2) | instid1(VALU_DEP_4)
	v_lshlrev_b64_e32 v[5:6], 3, v[6:7]
	s_wait_alu 0xf1ff
	v_add_co_ci_u32_e64 v31, null, v24, v9, s0
	v_add_co_u32 v32, s0, v23, v3
	s_wait_alu 0xf1ff
	v_add_co_ci_u32_e64 v33, null, v24, v4, s0
	v_add_co_u32 v3, s0, v27, v5
	;; [unrolled: 3-line block ×3, first 2 shown]
	s_wait_alu 0xf1ff
	v_add_co_ci_u32_e64 v6, null, v33, v9, s0
	s_branch .LBB59_10
.LBB59_9:                               ;   in Loop: Header=BB59_10 Depth=3
	s_wait_alu 0xfffe
	s_or_b32 exec_lo, exec_lo, s0
	s_add_co_i32 s38, s38, 32
	s_wait_storecnt 0x0
	s_wait_loadcnt_dscnt 0x0
	s_wait_alu 0xfffe
	s_cmp_ge_i32 s38, s6
	s_barrier_signal -1
	s_barrier_wait -1
	global_inv scope:SCOPE_SE
	s_cbranch_scc1 .LBB59_6
.LBB59_10:                              ;   Parent Loop BB59_4 Depth=1
                                        ;     Parent Loop BB59_7 Depth=2
                                        ; =>    This Inner Loop Header: Depth=3
	s_wait_alu 0xfffe
	v_dual_mov_b32 v7, 0 :: v_dual_add_nc_u32 v8, s38, v12
	v_dual_mov_b32 v10, 0 :: v_dual_mov_b32 v11, 0
	s_delay_alu instid0(VALU_DEP_2)
	v_cmp_gt_i32_e32 vcc_lo, s6, v8
	s_and_b32 s39, s3, vcc_lo
	s_wait_alu 0xfffe
	s_and_saveexec_b32 s0, s39
	s_cbranch_execz .LBB59_12
; %bb.11:                               ;   in Loop: Header=BB59_10 Depth=3
	v_ashrrev_i32_e32 v10, 31, v8
	v_mul_lo_u32 v11, s25, v8
	v_mad_co_u64_u32 v[8:9], null, s24, v8, 0
	s_delay_alu instid0(VALU_DEP_3) | instskip(NEXT) | instid1(VALU_DEP_1)
	v_mul_lo_u32 v10, s24, v10
	v_add3_u32 v9, v9, v10, v11
	s_delay_alu instid0(VALU_DEP_1) | instskip(NEXT) | instid1(VALU_DEP_1)
	v_lshlrev_b64_e32 v[8:9], 3, v[8:9]
	v_add_co_u32 v8, vcc_lo, v25, v8
	s_wait_alu 0xfffd
	s_delay_alu instid0(VALU_DEP_2)
	v_add_co_ci_u32_e64 v9, null, v26, v9, vcc_lo
	flat_load_b64 v[10:11], v[8:9]
.LBB59_12:                              ;   in Loop: Header=BB59_10 Depth=3
	s_wait_alu 0xfffe
	s_or_b32 exec_lo, exec_lo, s0
	v_add_nc_u32_e32 v9, s38, v13
	s_mov_b32 s39, exec_lo
	s_wait_loadcnt_dscnt 0x0
	ds_store_b64 v16, v[10:11]
	v_cndmask_b32_e64 v8, v2, v9, s2
	v_cndmask_b32_e64 v35, v9, v2, s2
	s_delay_alu instid0(VALU_DEP_1) | instskip(SKIP_4) | instid1(VALU_DEP_3)
	v_cmp_gt_i32_e32 vcc_lo, v8, v35
	s_wait_alu 0xfffd
	v_dual_cndmask_b32 v36, v9, v2 :: v_dual_cndmask_b32 v37, v2, v9
	v_cmp_le_i32_e32 vcc_lo, v8, v35
	v_mov_b32_e32 v8, 0
	v_max_i32_e32 v36, v36, v37
	s_delay_alu instid0(VALU_DEP_1)
	v_cmpx_gt_i32_e64 s6, v36
	s_cbranch_execz .LBB59_22
; %bb.13:                               ;   in Loop: Header=BB59_10 Depth=3
                                        ; implicit-def: $vgpr8
	s_and_saveexec_b32 s0, vcc_lo
	s_wait_alu 0xfffe
	s_xor_b32 s0, exec_lo, s0
	s_cbranch_execz .LBB59_19
; %bb.14:                               ;   in Loop: Header=BB59_10 Depth=3
	v_add_nc_u32_e32 v7, s38, v34
	s_delay_alu instid0(VALU_DEP_1) | instskip(SKIP_1) | instid1(SALU_CYCLE_1)
	v_cmp_ne_u32_e32 vcc_lo, 0, v7
                                        ; implicit-def: $vgpr8
	s_and_saveexec_b32 s40, vcc_lo
	s_xor_b32 s40, exec_lo, s40
	s_cbranch_execz .LBB59_16
; %bb.15:                               ;   in Loop: Header=BB59_10 Depth=3
	v_ashrrev_i32_e32 v10, 31, v9
	s_delay_alu instid0(VALU_DEP_1) | instskip(NEXT) | instid1(VALU_DEP_1)
	v_lshlrev_b64_e32 v[7:8], 3, v[9:10]
	v_add_co_u32 v7, vcc_lo, v32, v7
	s_wait_alu 0xfffd
	s_delay_alu instid0(VALU_DEP_2)
	v_add_co_ci_u32_e64 v8, null, v33, v8, vcc_lo
	flat_load_b64 v[7:8], v[7:8]
.LBB59_16:                              ;   in Loop: Header=BB59_10 Depth=3
	s_and_not1_saveexec_b32 s40, s40
	s_cbranch_execz .LBB59_18
; %bb.17:                               ;   in Loop: Header=BB59_10 Depth=3
	s_wait_loadcnt_dscnt 0x0
	flat_load_b32 v7, v[5:6]
	v_mov_b32_e32 v8, 0
.LBB59_18:                              ;   in Loop: Header=BB59_10 Depth=3
	s_or_b32 exec_lo, exec_lo, s40
                                        ; implicit-def: $vgpr9
.LBB59_19:                              ;   in Loop: Header=BB59_10 Depth=3
	s_wait_alu 0xfffe
	s_and_not1_saveexec_b32 s0, s0
	s_cbranch_execz .LBB59_21
; %bb.20:                               ;   in Loop: Header=BB59_10 Depth=3
	v_ashrrev_i32_e32 v10, 31, v9
	v_mul_lo_u32 v11, s23, v9
	s_wait_loadcnt_dscnt 0x0
	v_mad_co_u64_u32 v[7:8], null, s22, v9, 0
	s_delay_alu instid0(VALU_DEP_3) | instskip(NEXT) | instid1(VALU_DEP_1)
	v_mul_lo_u32 v9, s22, v10
	v_add3_u32 v8, v8, v9, v11
	s_delay_alu instid0(VALU_DEP_1) | instskip(NEXT) | instid1(VALU_DEP_1)
	v_lshlrev_b64_e32 v[7:8], 3, v[7:8]
	v_add_co_u32 v7, vcc_lo, v30, v7
	s_wait_alu 0xfffd
	s_delay_alu instid0(VALU_DEP_2)
	v_add_co_ci_u32_e64 v8, null, v31, v8, vcc_lo
	flat_load_b64 v[7:8], v[7:8]
	s_wait_loadcnt_dscnt 0x0
	v_xor_b32_e32 v8, 0x80000000, v8
.LBB59_21:                              ;   in Loop: Header=BB59_10 Depth=3
	s_wait_alu 0xfffe
	s_or_b32 exec_lo, exec_lo, s0
.LBB59_22:                              ;   in Loop: Header=BB59_10 Depth=3
	s_wait_alu 0xfffe
	s_or_b32 exec_lo, exec_lo, s39
	s_wait_loadcnt_dscnt 0x0
	ds_store_b64 v17, v[7:8]
	s_wait_dscnt 0x0
	s_barrier_signal -1
	s_barrier_wait -1
	global_inv scope:SCOPE_SE
	s_and_saveexec_b32 s0, s37
	s_cbranch_execz .LBB59_9
; %bb.23:                               ;   in Loop: Header=BB59_10 Depth=3
	flat_load_b64 v[7:8], v[3:4]
	ds_load_2addr_b64 v[35:38], v15 offset1:32
	ds_load_b128 v[39:42], v14
	ds_load_b128 v[43:46], v14 offset:16
	ds_load_b128 v[47:50], v14 offset:32
	;; [unrolled: 1-line block ×3, first 2 shown]
	ds_load_2addr_b64 v[55:58], v15 offset0:64 offset1:96
	ds_load_2addr_b64 v[59:62], v15 offset0:128 offset1:160
	;; [unrolled: 1-line block ×3, first 2 shown]
	ds_load_2addr_b64 v[67:70], v20 offset1:32
	ds_load_b128 v[71:74], v14 offset:64
	ds_load_b128 v[75:78], v14 offset:80
	ds_load_2addr_b64 v[79:82], v20 offset0:64 offset1:96
	ds_load_2addr_b64 v[83:86], v20 offset0:128 offset1:160
	ds_load_b128 v[87:90], v14 offset:96
	ds_load_b128 v[91:94], v14 offset:112
	ds_load_2addr_b64 v[95:98], v20 offset0:192 offset1:224
	ds_load_2addr_b64 v[99:102], v21 offset1:32
	ds_load_b128 v[103:106], v14 offset:128
	ds_load_b128 v[107:110], v14 offset:144
	ds_load_2addr_b64 v[111:114], v21 offset0:64 offset1:96
	ds_load_2addr_b64 v[115:118], v21 offset0:128 offset1:160
	ds_load_b128 v[119:122], v14 offset:160
	ds_load_b128 v[123:126], v14 offset:176
	ds_load_2addr_b64 v[127:130], v21 offset0:192 offset1:224
	ds_load_2addr_b64 v[131:134], v22 offset1:32
	s_wait_dscnt 0x17
	v_dual_mul_f32 v10, v35, v40 :: v_dual_mul_f32 v11, v38, v42
	v_mul_f32_e32 v9, v36, v40
	s_wait_dscnt 0x12
	v_dual_mul_f32 v137, v57, v46 :: v_dual_mul_f32 v138, v59, v48
	s_delay_alu instid0(VALU_DEP_3)
	v_dual_fmac_f32 v10, v36, v39 :: v_dual_mul_f32 v135, v37, v42
	v_mul_f32_e32 v40, v56, v44
	v_mul_f32_e32 v42, v58, v46
	v_fma_f32 v9, v35, v39, -v9
	v_dual_fmac_f32 v137, v58, v45 :: v_dual_fmac_f32 v138, v60, v47
	s_wait_dscnt 0x11
	v_dual_mul_f32 v145, v65, v54 :: v_dual_mul_f32 v144, v63, v52
	v_dual_mul_f32 v136, v55, v44 :: v_dual_fmac_f32 v135, v38, v41
	v_fma_f32 v11, v37, v41, -v11
	v_dual_mul_f32 v44, v60, v48 :: v_dual_mul_f32 v139, v61, v50
	v_mul_f32_e32 v48, v66, v54
	v_dual_fmac_f32 v145, v66, v53 :: v_dual_fmac_f32 v144, v64, v51
	v_dual_add_f32 v9, 0, v9 :: v_dual_add_f32 v10, 0, v10
	v_mul_f32_e32 v46, v62, v50
	v_fma_f32 v140, v55, v43, -v40
	v_dual_fmac_f32 v136, v56, v43 :: v_dual_fmac_f32 v139, v62, v49
	v_fma_f32 v142, v59, v47, -v44
	v_mul_f32_e32 v47, v64, v52
	v_fma_f32 v64, v65, v53, -v48
	s_wait_dscnt 0xf
	v_dual_mul_f32 v65, v67, v72 :: v_dual_mul_f32 v66, v69, v74
	v_add_f32_e32 v9, v9, v11
	s_wait_dscnt 0xd
	v_dual_add_f32 v10, v10, v135 :: v_dual_mul_f32 v11, v80, v76
	v_fma_f32 v141, v57, v45, -v42
	v_mul_f32_e32 v52, v68, v72
	v_dual_fmac_f32 v65, v68, v71 :: v_dual_fmac_f32 v66, v70, v73
	v_add_f32_e32 v9, v9, v140
	v_add_f32_e32 v10, v10, v136
	v_fma_f32 v63, v63, v51, -v47
	v_mul_f32_e32 v51, v70, v74
	v_fma_f32 v67, v67, v71, -v52
	v_add_f32_e32 v9, v9, v141
	v_dual_mul_f32 v71, v81, v78 :: v_dual_add_f32 v10, v10, v137
	v_fma_f32 v143, v61, v49, -v46
	v_fma_f32 v68, v69, v73, -v51
	v_dual_mul_f32 v69, v79, v76 :: v_dual_mul_f32 v70, v82, v78
	s_wait_dscnt 0xb
	v_dual_mul_f32 v73, v83, v88 :: v_dual_add_f32 v10, v10, v138
	s_wait_dscnt 0x9
	v_dual_add_f32 v9, v9, v142 :: v_dual_mul_f32 v76, v96, v92
	v_fma_f32 v11, v79, v75, -v11
	v_dual_fmac_f32 v69, v80, v75 :: v_dual_mul_f32 v74, v86, v90
	v_dual_mul_f32 v75, v85, v90 :: v_dual_add_f32 v10, v10, v139
	s_wait_dscnt 0x7
	v_dual_add_f32 v9, v9, v143 :: v_dual_mul_f32 v80, v100, v104
	v_dual_mul_f32 v79, v97, v94 :: v_dual_mul_f32 v72, v84, v88
	v_fmac_f32_e32 v71, v82, v77
	s_delay_alu instid0(VALU_DEP_3)
	v_dual_add_f32 v10, v10, v144 :: v_dual_add_f32 v9, v9, v63
	s_wait_dscnt 0x5
	v_mul_f32_e32 v90, v114, v110
	ds_load_b128 v[35:38], v14 offset:192
	ds_load_b128 v[39:42], v14 offset:208
	v_fma_f32 v70, v81, v77, -v70
	v_dual_add_f32 v10, v10, v145 :: v_dual_add_f32 v9, v9, v64
	v_mul_f32_e32 v88, v111, v108
	v_dual_mul_f32 v77, v95, v92 :: v_dual_mul_f32 v78, v98, v94
	s_delay_alu instid0(VALU_DEP_3) | instskip(NEXT) | instid1(VALU_DEP_4)
	v_dual_add_f32 v10, v10, v65 :: v_dual_mul_f32 v65, v113, v110
	v_add_f32_e32 v9, v9, v67
	s_wait_dscnt 0x5
	v_mul_f32_e32 v67, v116, v120
	s_delay_alu instid0(VALU_DEP_3) | instskip(NEXT) | instid1(VALU_DEP_3)
	v_dual_fmac_f32 v73, v84, v87 :: v_dual_add_f32 v10, v10, v66
	v_dual_mul_f32 v66, v118, v122 :: v_dual_add_f32 v9, v9, v68
	v_dual_mul_f32 v92, v115, v120 :: v_dual_fmac_f32 v75, v86, v89
	s_delay_alu instid0(VALU_DEP_3)
	v_add_f32_e32 v10, v10, v69
	v_fma_f32 v69, v83, v87, -v72
	s_wait_dscnt 0x3
	v_dual_add_f32 v9, v9, v11 :: v_dual_mul_f32 v94, v128, v124
	v_fma_f32 v72, v95, v91, -v76
	v_fmac_f32_e32 v77, v96, v91
	v_fmac_f32_e32 v79, v98, v93
	s_delay_alu instid0(VALU_DEP_4)
	v_dual_add_f32 v9, v9, v70 :: v_dual_add_f32 v10, v10, v71
	v_fma_f32 v71, v85, v89, -v74
	v_mul_f32_e32 v70, v130, v126
	ds_load_2addr_b64 v[43:46], v22 offset0:64 offset1:96
	v_add_f32_e32 v9, v9, v69
	v_dual_add_f32 v10, v10, v73 :: v_dual_mul_f32 v69, v129, v126
	v_dual_mul_f32 v63, v99, v104 :: v_dual_mul_f32 v82, v101, v106
	s_delay_alu instid0(VALU_DEP_3)
	v_add_f32_e32 v9, v9, v71
	s_wait_dscnt 0x2
	v_mul_f32_e32 v71, v132, v36
	v_mul_f32_e32 v36, v131, v36
	v_add_f32_e32 v10, v10, v75
	v_fma_f32 v73, v97, v93, -v78
	v_add_f32_e32 v9, v9, v72
	v_dual_mul_f32 v81, v102, v106 :: v_dual_mul_f32 v64, v112, v108
	s_delay_alu instid0(VALU_DEP_4)
	v_add_f32_e32 v10, v10, v77
	v_fma_f32 v72, v99, v103, -v80
	v_dual_fmac_f32 v63, v100, v103 :: v_dual_fmac_f32 v82, v102, v105
	v_add_f32_e32 v9, v9, v73
	v_dual_mul_f32 v73, v134, v38 :: v_dual_fmac_f32 v88, v112, v107
	v_mul_f32_e32 v38, v133, v38
	v_add_f32_e32 v10, v10, v79
	v_fma_f32 v74, v101, v105, -v81
	v_fmac_f32_e32 v65, v114, v109
	ds_load_2addr_b64 v[47:50], v22 offset0:128 offset1:160
	v_dual_mul_f32 v68, v117, v122 :: v_dual_mul_f32 v11, v127, v124
	v_dual_add_f32 v10, v10, v63 :: v_dual_add_f32 v9, v9, v72
	v_fma_f32 v63, v111, v107, -v64
	s_wait_dscnt 0x1
	v_mul_f32_e32 v64, v44, v40
	v_fma_f32 v72, v113, v109, -v90
	v_add_f32_e32 v10, v10, v82
	v_dual_add_f32 v9, v9, v74 :: v_dual_mul_f32 v40, v43, v40
	ds_load_b128 v[51:54], v14 offset:224
	ds_load_b128 v[55:58], v14 offset:240
	ds_load_2addr_b64 v[59:62], v22 offset0:192 offset1:224
	v_fma_f32 v66, v117, v121, -v66
	v_dual_add_f32 v10, v10, v88 :: v_dual_add_f32 v9, v9, v63
	v_fma_f32 v63, v115, v119, -v67
	v_fmac_f32_e32 v92, v116, v119
	v_dual_fmac_f32 v68, v118, v121 :: v_dual_fmac_f32 v11, v128, v123
	s_delay_alu instid0(VALU_DEP_4) | instskip(SKIP_2) | instid1(VALU_DEP_3)
	v_dual_add_f32 v9, v9, v72 :: v_dual_add_f32 v10, v10, v65
	v_mul_f32_e32 v65, v46, v42
	v_dual_mul_f32 v42, v45, v42 :: v_dual_fmac_f32 v69, v130, v125
	v_dual_add_f32 v9, v9, v63 :: v_dual_add_f32 v10, v10, v92
	v_fma_f32 v63, v127, v123, -v94
	v_fma_f32 v67, v129, v125, -v70
	s_delay_alu instid0(VALU_DEP_3) | instskip(NEXT) | instid1(VALU_DEP_4)
	v_dual_fmac_f32 v36, v132, v35 :: v_dual_add_f32 v9, v9, v66
	v_add_f32_e32 v10, v10, v68
	s_wait_dscnt 0x2
	s_delay_alu instid0(VALU_DEP_2) | instskip(NEXT) | instid1(VALU_DEP_2)
	v_dual_mul_f32 v66, v48, v52 :: v_dual_add_f32 v9, v9, v63
	v_dual_add_f32 v10, v10, v11 :: v_dual_mul_f32 v11, v47, v52
	v_fma_f32 v52, v131, v35, -v71
	v_fma_f32 v63, v133, v37, -v73
	s_delay_alu instid0(VALU_DEP_3) | instskip(SKIP_3) | instid1(VALU_DEP_4)
	v_dual_add_f32 v9, v9, v67 :: v_dual_add_f32 v10, v10, v69
	v_fmac_f32_e32 v38, v134, v37
	v_mul_f32_e32 v35, v50, v54
	v_fma_f32 v37, v43, v39, -v64
	v_add_f32_e32 v9, v9, v52
	v_dual_add_f32 v10, v10, v36 :: v_dual_fmac_f32 v11, v48, v51
	v_mul_f32_e32 v36, v49, v54
	v_fma_f32 v35, v49, v53, -v35
	s_delay_alu instid0(VALU_DEP_4)
	v_add_f32_e32 v9, v9, v63
	v_fmac_f32_e32 v40, v44, v39
	v_add_f32_e32 v10, v10, v38
	v_fma_f32 v39, v45, v41, -v65
	s_wait_dscnt 0x0
	v_dual_add_f32 v9, v9, v37 :: v_dual_mul_f32 v38, v60, v56
	s_delay_alu instid0(VALU_DEP_3) | instskip(SKIP_2) | instid1(VALU_DEP_4)
	v_add_f32_e32 v10, v10, v40
	v_fma_f32 v40, v47, v51, -v66
	v_mul_f32_e32 v37, v59, v56
	v_dual_add_f32 v9, v9, v39 :: v_dual_fmac_f32 v42, v46, v41
	v_mul_f32_e32 v39, v62, v58
	v_fma_f32 v38, v59, v55, -v38
	s_delay_alu instid0(VALU_DEP_4) | instskip(NEXT) | instid1(VALU_DEP_4)
	v_fmac_f32_e32 v37, v60, v55
	v_dual_add_f32 v9, v9, v40 :: v_dual_add_f32 v10, v10, v42
	s_delay_alu instid0(VALU_DEP_1) | instskip(NEXT) | instid1(VALU_DEP_2)
	v_dual_fmac_f32 v36, v50, v53 :: v_dual_add_f32 v9, v9, v35
	v_dual_add_f32 v10, v10, v11 :: v_dual_mul_f32 v11, v61, v58
	v_fma_f32 v35, v61, v57, -v39
	s_delay_alu instid0(VALU_DEP_2) | instskip(NEXT) | instid1(VALU_DEP_3)
	v_dual_add_f32 v9, v9, v38 :: v_dual_add_f32 v10, v10, v36
	v_fmac_f32_e32 v11, v62, v57
	s_delay_alu instid0(VALU_DEP_2) | instskip(NEXT) | instid1(VALU_DEP_1)
	v_dual_add_f32 v9, v9, v35 :: v_dual_add_f32 v10, v10, v37
	v_dual_mul_f32 v35, s28, v9 :: v_dual_add_f32 v10, v10, v11
	s_delay_alu instid0(VALU_DEP_1) | instskip(NEXT) | instid1(VALU_DEP_2)
	v_mul_f32_e32 v11, s28, v10
	v_fmac_f32_e32 v35, s7, v10
	s_delay_alu instid0(VALU_DEP_2) | instskip(SKIP_1) | instid1(VALU_DEP_1)
	v_fma_f32 v9, s7, v9, -v11
	s_wait_loadcnt 0x0
	v_dual_add_f32 v7, v7, v9 :: v_dual_add_f32 v8, v8, v35
	flat_store_b64 v[3:4], v[7:8]
	s_branch .LBB59_9
.LBB59_24:
	s_endpgm
	.section	.rodata,"a",@progbits
	.p2align	6, 0x0
	.amdhsa_kernel _ZL24rocblas_symm_hemm_kernelILb1ELb1ELi32E19rocblas_complex_numIfEPKPKS1_PKPS1_EvbiiT2_T3_lllSA_lllT4_llli
		.amdhsa_group_segment_fixed_size 16384
		.amdhsa_private_segment_fixed_size 0
		.amdhsa_kernarg_size 384
		.amdhsa_user_sgpr_count 2
		.amdhsa_user_sgpr_dispatch_ptr 0
		.amdhsa_user_sgpr_queue_ptr 0
		.amdhsa_user_sgpr_kernarg_segment_ptr 1
		.amdhsa_user_sgpr_dispatch_id 0
		.amdhsa_user_sgpr_private_segment_size 0
		.amdhsa_wavefront_size32 1
		.amdhsa_uses_dynamic_stack 0
		.amdhsa_enable_private_segment 0
		.amdhsa_system_sgpr_workgroup_id_x 1
		.amdhsa_system_sgpr_workgroup_id_y 1
		.amdhsa_system_sgpr_workgroup_id_z 1
		.amdhsa_system_sgpr_workgroup_info 0
		.amdhsa_system_vgpr_workitem_id 1
		.amdhsa_next_free_vgpr 146
		.amdhsa_next_free_sgpr 41
		.amdhsa_reserve_vcc 1
		.amdhsa_float_round_mode_32 0
		.amdhsa_float_round_mode_16_64 0
		.amdhsa_float_denorm_mode_32 3
		.amdhsa_float_denorm_mode_16_64 3
		.amdhsa_fp16_overflow 0
		.amdhsa_workgroup_processor_mode 1
		.amdhsa_memory_ordered 1
		.amdhsa_forward_progress 1
		.amdhsa_inst_pref_size 22
		.amdhsa_round_robin_scheduling 0
		.amdhsa_exception_fp_ieee_invalid_op 0
		.amdhsa_exception_fp_denorm_src 0
		.amdhsa_exception_fp_ieee_div_zero 0
		.amdhsa_exception_fp_ieee_overflow 0
		.amdhsa_exception_fp_ieee_underflow 0
		.amdhsa_exception_fp_ieee_inexact 0
		.amdhsa_exception_int_div_zero 0
	.end_amdhsa_kernel
	.section	.text._ZL24rocblas_symm_hemm_kernelILb1ELb1ELi32E19rocblas_complex_numIfEPKPKS1_PKPS1_EvbiiT2_T3_lllSA_lllT4_llli,"axG",@progbits,_ZL24rocblas_symm_hemm_kernelILb1ELb1ELi32E19rocblas_complex_numIfEPKPKS1_PKPS1_EvbiiT2_T3_lllSA_lllT4_llli,comdat
.Lfunc_end59:
	.size	_ZL24rocblas_symm_hemm_kernelILb1ELb1ELi32E19rocblas_complex_numIfEPKPKS1_PKPS1_EvbiiT2_T3_lllSA_lllT4_llli, .Lfunc_end59-_ZL24rocblas_symm_hemm_kernelILb1ELb1ELi32E19rocblas_complex_numIfEPKPKS1_PKPS1_EvbiiT2_T3_lllSA_lllT4_llli
                                        ; -- End function
	.set _ZL24rocblas_symm_hemm_kernelILb1ELb1ELi32E19rocblas_complex_numIfEPKPKS1_PKPS1_EvbiiT2_T3_lllSA_lllT4_llli.num_vgpr, 146
	.set _ZL24rocblas_symm_hemm_kernelILb1ELb1ELi32E19rocblas_complex_numIfEPKPKS1_PKPS1_EvbiiT2_T3_lllSA_lllT4_llli.num_agpr, 0
	.set _ZL24rocblas_symm_hemm_kernelILb1ELb1ELi32E19rocblas_complex_numIfEPKPKS1_PKPS1_EvbiiT2_T3_lllSA_lllT4_llli.numbered_sgpr, 41
	.set _ZL24rocblas_symm_hemm_kernelILb1ELb1ELi32E19rocblas_complex_numIfEPKPKS1_PKPS1_EvbiiT2_T3_lllSA_lllT4_llli.num_named_barrier, 0
	.set _ZL24rocblas_symm_hemm_kernelILb1ELb1ELi32E19rocblas_complex_numIfEPKPKS1_PKPS1_EvbiiT2_T3_lllSA_lllT4_llli.private_seg_size, 0
	.set _ZL24rocblas_symm_hemm_kernelILb1ELb1ELi32E19rocblas_complex_numIfEPKPKS1_PKPS1_EvbiiT2_T3_lllSA_lllT4_llli.uses_vcc, 1
	.set _ZL24rocblas_symm_hemm_kernelILb1ELb1ELi32E19rocblas_complex_numIfEPKPKS1_PKPS1_EvbiiT2_T3_lllSA_lllT4_llli.uses_flat_scratch, 0
	.set _ZL24rocblas_symm_hemm_kernelILb1ELb1ELi32E19rocblas_complex_numIfEPKPKS1_PKPS1_EvbiiT2_T3_lllSA_lllT4_llli.has_dyn_sized_stack, 0
	.set _ZL24rocblas_symm_hemm_kernelILb1ELb1ELi32E19rocblas_complex_numIfEPKPKS1_PKPS1_EvbiiT2_T3_lllSA_lllT4_llli.has_recursion, 0
	.set _ZL24rocblas_symm_hemm_kernelILb1ELb1ELi32E19rocblas_complex_numIfEPKPKS1_PKPS1_EvbiiT2_T3_lllSA_lllT4_llli.has_indirect_call, 0
	.section	.AMDGPU.csdata,"",@progbits
; Kernel info:
; codeLenInByte = 2712
; TotalNumSgprs: 43
; NumVgprs: 146
; ScratchSize: 0
; MemoryBound: 0
; FloatMode: 240
; IeeeMode: 1
; LDSByteSize: 16384 bytes/workgroup (compile time only)
; SGPRBlocks: 0
; VGPRBlocks: 18
; NumSGPRsForWavesPerEU: 43
; NumVGPRsForWavesPerEU: 146
; Occupancy: 9
; WaveLimiterHint : 1
; COMPUTE_PGM_RSRC2:SCRATCH_EN: 0
; COMPUTE_PGM_RSRC2:USER_SGPR: 2
; COMPUTE_PGM_RSRC2:TRAP_HANDLER: 0
; COMPUTE_PGM_RSRC2:TGID_X_EN: 1
; COMPUTE_PGM_RSRC2:TGID_Y_EN: 1
; COMPUTE_PGM_RSRC2:TGID_Z_EN: 1
; COMPUTE_PGM_RSRC2:TIDIG_COMP_CNT: 1
	.section	.text._ZL24rocblas_symm_hemm_kernelILb1ELb0ELi32EPK19rocblas_complex_numIdEPKS3_PKPS1_EvbiiT2_T3_lllSA_lllT4_llli,"axG",@progbits,_ZL24rocblas_symm_hemm_kernelILb1ELb0ELi32EPK19rocblas_complex_numIdEPKS3_PKPS1_EvbiiT2_T3_lllSA_lllT4_llli,comdat
	.globl	_ZL24rocblas_symm_hemm_kernelILb1ELb0ELi32EPK19rocblas_complex_numIdEPKS3_PKPS1_EvbiiT2_T3_lllSA_lllT4_llli ; -- Begin function _ZL24rocblas_symm_hemm_kernelILb1ELb0ELi32EPK19rocblas_complex_numIdEPKS3_PKPS1_EvbiiT2_T3_lllSA_lllT4_llli
	.p2align	8
	.type	_ZL24rocblas_symm_hemm_kernelILb1ELb0ELi32EPK19rocblas_complex_numIdEPKS3_PKPS1_EvbiiT2_T3_lllSA_lllT4_llli,@function
_ZL24rocblas_symm_hemm_kernelILb1ELb0ELi32EPK19rocblas_complex_numIdEPKS3_PKPS1_EvbiiT2_T3_lllSA_lllT4_llli: ; @_ZL24rocblas_symm_hemm_kernelILb1ELb0ELi32EPK19rocblas_complex_numIdEPKS3_PKPS1_EvbiiT2_T3_lllSA_lllT4_llli
; %bb.0:
	s_load_b256 s[4:11], s[0:1], 0x10
	s_wait_kmcnt 0x0
	s_load_b128 s[12:15], s[4:5], 0x0
	s_wait_kmcnt 0x0
	v_cmp_eq_f64_e64 s2, s[12:13], 0
	v_cmp_eq_f64_e64 s3, s[14:15], 0
	s_and_b32 s2, s2, s3
	s_delay_alu instid0(SALU_CYCLE_1)
	s_and_b32 vcc_lo, exec_lo, s2
	s_cbranch_vccnz .LBB60_26
; %bb.1:
	s_load_b32 s27, s[0:1], 0x78
	s_lshr_b32 s4, ttmp7, 16
	s_wait_kmcnt 0x0
	s_cmp_ge_u32 s4, s27
	s_cbranch_scc1 .LBB60_26
; %bb.2:
	s_clause 0x1
	s_load_b96 s[24:26], s[0:1], 0x0
	s_load_b128 s[16:19], s[0:1], 0x38
	v_and_b32_e32 v19, 0x3ff, v0
	s_clause 0x2
	s_load_b64 s[28:29], s[0:1], 0x68
	s_load_b64 s[30:31], s[0:1], 0x48
	s_load_b128 s[20:23], s[0:1], 0x58
	v_bfe_u32 v20, v0, 10, 10
	s_add_nc_u64 s[34:35], s[0:1], 0x80
	s_mov_b32 s5, 0
	v_lshl_add_u32 v8, ttmp9, 5, v19
	v_lshlrev_b32_e32 v21, 9, v19
	v_lshlrev_b32_e32 v2, 4, v20
	s_delay_alu instid0(VALU_DEP_3) | instskip(SKIP_2) | instid1(VALU_DEP_4)
	v_ashrrev_i32_e32 v9, 31, v8
	v_mul_lo_u32 v3, s11, v8
	v_mad_co_u64_u32 v[0:1], null, s10, v8, 0
	v_or_b32_e32 v22, 0x4000, v2
	s_delay_alu instid0(VALU_DEP_4)
	v_mul_lo_u32 v4, s10, v9
	v_lshlrev_b64_e32 v[9:10], 4, v[8:9]
	v_add_nc_u32_e32 v23, v21, v2
	s_wait_kmcnt 0x0
	s_bitcmp1_b32 s24, 0
	v_add_nc_u32_e32 v24, v22, v21
	s_cselect_b32 s0, -1, 0
	s_add_co_i32 s1, s26, -1
	s_wait_alu 0xfffe
	s_and_b32 s24, ttmp7, 0xffff
	s_ashr_i32 s2, s1, 31
	v_add3_u32 v1, v1, v4, v3
	s_lshr_b32 s2, s2, 27
	s_delay_alu instid0(SALU_CYCLE_1)
	s_add_co_i32 s1, s1, s2
	s_wait_alu 0xfffe
	s_ashr_i32 s33, s1, 5
	v_lshlrev_b64_e32 v[11:12], 4, v[0:1]
	s_cmp_le_i32 s24, s33
	v_cmp_gt_i32_e64 s1, s25, v8
	s_cselect_b32 s38, -1, 0
	s_cmp_gt_i32 s25, 0
	s_cselect_b32 s39, -1, 0
	s_lshl_b64 s[18:19], s[18:19], 4
	s_lshl_b64 s[22:23], s[22:23], 4
	;; [unrolled: 1-line block ×3, first 2 shown]
	s_branch .LBB60_4
.LBB60_3:                               ;   in Loop: Header=BB60_4 Depth=1
	s_add_co_i32 s4, s4, 0x10000
	s_delay_alu instid0(SALU_CYCLE_1)
	s_cmp_lt_u32 s4, s27
	s_cbranch_scc0 .LBB60_26
.LBB60_4:                               ; =>This Loop Header: Depth=1
                                        ;     Child Loop BB60_7 Depth 2
                                        ;       Child Loop BB60_10 Depth 3
                                        ;         Child Loop BB60_24 Depth 4
	s_and_not1_b32 vcc_lo, exec_lo, s38
	s_wait_alu 0xfffe
	s_cbranch_vccnz .LBB60_3
; %bb.5:                                ;   in Loop: Header=BB60_4 Depth=1
	s_lshl_b64 s[2:3], s[4:5], 3
	s_wait_alu 0xfffe
	s_add_nc_u64 s[36:37], s[20:21], s[2:3]
	s_add_nc_u64 s[40:41], s[6:7], s[2:3]
	s_load_b64 s[36:37], s[36:37], 0x0
	s_load_b64 s[42:43], s[40:41], 0x0
	s_add_nc_u64 s[2:3], s[16:17], s[2:3]
	s_load_b32 s40, s[34:35], 0x4
	s_load_b64 s[2:3], s[2:3], 0x0
	s_mov_b32 s41, s24
	s_wait_kmcnt 0x0
	s_add_nc_u64 s[36:37], s[36:37], s[22:23]
	s_add_nc_u64 s[42:43], s[42:43], s[8:9]
	s_wait_alu 0xfffe
	v_add_co_u32 v25, vcc_lo, s42, v9
	s_wait_alu 0xfffd
	v_add_co_ci_u32_e64 v26, null, s43, v10, vcc_lo
	v_add_co_u32 v27, vcc_lo, s42, v11
	s_wait_alu 0xfffd
	v_add_co_ci_u32_e64 v28, null, s43, v12, vcc_lo
	;; [unrolled: 3-line block ×4, first 2 shown]
	s_add_nc_u64 s[36:37], s[2:3], s[18:19]
	s_branch .LBB60_7
.LBB60_6:                               ;   in Loop: Header=BB60_7 Depth=2
	s_add_co_i32 s41, s41, s40
	s_wait_alu 0xfffe
	s_cmp_gt_i32 s41, s33
	s_cbranch_scc1 .LBB60_3
.LBB60_7:                               ;   Parent Loop BB60_4 Depth=1
                                        ; =>  This Loop Header: Depth=2
                                        ;       Child Loop BB60_10 Depth 3
                                        ;         Child Loop BB60_24 Depth 4
	s_and_not1_b32 vcc_lo, exec_lo, s39
	s_wait_alu 0xfffe
	s_cbranch_vccnz .LBB60_6
; %bb.8:                                ;   in Loop: Header=BB60_7 Depth=2
	v_lshl_add_u32 v4, s41, 5, v20
	s_mov_b32 s43, 0
	s_delay_alu instid0(VALU_DEP_1) | instskip(SKIP_3) | instid1(VALU_DEP_4)
	v_ashrrev_i32_e32 v5, 31, v4
	v_mul_lo_u32 v6, s31, v4
	v_mad_co_u64_u32 v[0:1], null, s30, v4, 0
	v_mul_lo_u32 v15, s29, v4
	v_mul_lo_u32 v7, s30, v5
	v_mad_co_u64_u32 v[2:3], null, s28, v4, 0
	v_mul_lo_u32 v5, s28, v5
	v_cmp_gt_i32_e32 vcc_lo, s26, v4
	s_delay_alu instid0(VALU_DEP_4) | instskip(SKIP_1) | instid1(VALU_DEP_3)
	v_add3_u32 v1, v1, v7, v6
	s_and_b32 s42, s1, vcc_lo
	v_add3_u32 v3, v3, v5, v15
	s_delay_alu instid0(VALU_DEP_2) | instskip(NEXT) | instid1(VALU_DEP_2)
	v_lshlrev_b64_e32 v[0:1], 4, v[0:1]
	v_lshlrev_b64_e32 v[2:3], 4, v[2:3]
	s_delay_alu instid0(VALU_DEP_2) | instskip(SKIP_1) | instid1(VALU_DEP_3)
	v_add_co_u32 v31, s2, s36, v0
	s_wait_alu 0xf1ff
	v_add_co_ci_u32_e64 v32, null, s37, v1, s2
	s_delay_alu instid0(VALU_DEP_3)
	v_add_co_u32 v15, s2, v29, v2
	s_wait_alu 0xf1ff
	v_add_co_ci_u32_e64 v16, null, v30, v3, s2
	s_branch .LBB60_10
.LBB60_9:                               ;   in Loop: Header=BB60_10 Depth=3
	s_wait_alu 0xfffe
	s_or_b32 exec_lo, exec_lo, s2
	s_add_co_i32 s43, s43, 32
	s_wait_storecnt 0x0
	s_wait_loadcnt_dscnt 0x0
	s_wait_alu 0xfffe
	s_cmp_ge_i32 s43, s25
	s_barrier_signal -1
	s_barrier_wait -1
	global_inv scope:SCOPE_SE
	s_cbranch_scc1 .LBB60_6
.LBB60_10:                              ;   Parent Loop BB60_4 Depth=1
                                        ;     Parent Loop BB60_7 Depth=2
                                        ; =>    This Loop Header: Depth=3
                                        ;         Child Loop BB60_24 Depth 4
	s_wait_alu 0xfffe
	v_add_nc_u32_e32 v2, s43, v20
	v_mov_b32_e32 v6, 0
	s_mov_b32 s44, exec_lo
	v_mov_b32_e32 v7, 0
	s_delay_alu instid0(VALU_DEP_3) | instskip(SKIP_1) | instid1(VALU_DEP_1)
	v_cndmask_b32_e64 v0, v2, v8, s0
	v_cndmask_b32_e64 v1, v8, v2, s0
	v_cmp_gt_i32_e64 s2, v0, v1
	s_wait_alu 0xf1ff
	s_delay_alu instid0(VALU_DEP_1) | instskip(SKIP_4) | instid1(VALU_DEP_4)
	v_cndmask_b32_e64 v3, v8, v2, s2
	v_cndmask_b32_e64 v4, v2, v8, s2
	v_cmp_le_i32_e64 s2, v0, v1
	v_mov_b32_e32 v0, 0
	v_mov_b32_e32 v1, 0
	v_max_i32_e32 v3, v3, v4
	v_mov_b32_e32 v4, 0
	v_mov_b32_e32 v5, 0
	s_delay_alu instid0(VALU_DEP_3)
	v_cmpx_gt_i32_e64 s25, v3
	s_cbranch_execz .LBB60_20
; %bb.11:                               ;   in Loop: Header=BB60_10 Depth=3
                                        ; implicit-def: $vgpr6_vgpr7
	s_and_saveexec_b32 s3, s2
	s_wait_alu 0xfffe
	s_xor_b32 s3, exec_lo, s3
	s_cbranch_execz .LBB60_17
; %bb.12:                               ;   in Loop: Header=BB60_10 Depth=3
	s_mov_b32 s45, exec_lo
                                        ; implicit-def: $vgpr6_vgpr7
	v_cmpx_ne_u32_e64 v8, v2
	s_xor_b32 s45, exec_lo, s45
	s_cbranch_execz .LBB60_14
; %bb.13:                               ;   in Loop: Header=BB60_10 Depth=3
	v_ashrrev_i32_e32 v4, 31, v2
	v_mul_lo_u32 v5, s11, v2
	v_mad_co_u64_u32 v[2:3], null, s10, v2, 0
	s_delay_alu instid0(VALU_DEP_3) | instskip(NEXT) | instid1(VALU_DEP_1)
	v_mul_lo_u32 v4, s10, v4
	v_add3_u32 v3, v3, v4, v5
	s_delay_alu instid0(VALU_DEP_1) | instskip(NEXT) | instid1(VALU_DEP_1)
	v_lshlrev_b64_e32 v[2:3], 4, v[2:3]
	v_add_co_u32 v2, s2, v25, v2
	s_wait_alu 0xf1ff
	s_delay_alu instid0(VALU_DEP_2)
	v_add_co_ci_u32_e64 v3, null, v26, v3, s2
	flat_load_b128 v[4:7], v[2:3]
.LBB60_14:                              ;   in Loop: Header=BB60_10 Depth=3
	s_and_not1_saveexec_b32 s2, s45
	s_cbranch_execz .LBB60_16
; %bb.15:                               ;   in Loop: Header=BB60_10 Depth=3
	s_wait_loadcnt_dscnt 0x0
	flat_load_b64 v[4:5], v[13:14]
	v_mov_b32_e32 v6, 0
	v_mov_b32_e32 v7, 0
.LBB60_16:                              ;   in Loop: Header=BB60_10 Depth=3
	s_wait_alu 0xfffe
	s_or_b32 exec_lo, exec_lo, s2
                                        ; implicit-def: $vgpr2
.LBB60_17:                              ;   in Loop: Header=BB60_10 Depth=3
	s_wait_alu 0xfffe
	s_and_not1_saveexec_b32 s3, s3
	s_cbranch_execz .LBB60_19
; %bb.18:                               ;   in Loop: Header=BB60_10 Depth=3
	v_ashrrev_i32_e32 v3, 31, v2
	s_delay_alu instid0(VALU_DEP_1) | instskip(NEXT) | instid1(VALU_DEP_1)
	v_lshlrev_b64_e32 v[2:3], 4, v[2:3]
	v_add_co_u32 v2, s2, v27, v2
	s_wait_alu 0xf1ff
	s_delay_alu instid0(VALU_DEP_2)
	v_add_co_ci_u32_e64 v3, null, v28, v3, s2
	s_wait_loadcnt_dscnt 0x0
	flat_load_b128 v[4:7], v[2:3]
	s_wait_loadcnt_dscnt 0x0
	v_xor_b32_e32 v7, 0x80000000, v7
.LBB60_19:                              ;   in Loop: Header=BB60_10 Depth=3
	s_wait_alu 0xfffe
	s_or_b32 exec_lo, exec_lo, s3
.LBB60_20:                              ;   in Loop: Header=BB60_10 Depth=3
	s_delay_alu instid0(SALU_CYCLE_1)
	s_or_b32 exec_lo, exec_lo, s44
	v_dual_mov_b32 v2, 0 :: v_dual_add_nc_u32 v17, s43, v19
	v_mov_b32_e32 v3, 0
	s_wait_loadcnt_dscnt 0x0
	ds_store_b128 v23, v[4:7]
	v_cmp_gt_i32_e64 s2, s25, v17
	s_and_b32 s2, s2, vcc_lo
	s_wait_alu 0xfffe
	s_and_saveexec_b32 s3, s2
	s_cbranch_execz .LBB60_22
; %bb.21:                               ;   in Loop: Header=BB60_10 Depth=3
	v_ashrrev_i32_e32 v18, 31, v17
	s_delay_alu instid0(VALU_DEP_1) | instskip(NEXT) | instid1(VALU_DEP_1)
	v_lshlrev_b64_e32 v[0:1], 4, v[17:18]
	v_add_co_u32 v0, s2, v31, v0
	s_wait_alu 0xf1ff
	s_delay_alu instid0(VALU_DEP_2)
	v_add_co_ci_u32_e64 v1, null, v32, v1, s2
	flat_load_b128 v[0:3], v[0:1]
.LBB60_22:                              ;   in Loop: Header=BB60_10 Depth=3
	s_wait_alu 0xfffe
	s_or_b32 exec_lo, exec_lo, s3
	s_wait_loadcnt_dscnt 0x0
	ds_store_b128 v24, v[0:3]
	s_wait_dscnt 0x0
	s_barrier_signal -1
	s_barrier_wait -1
	global_inv scope:SCOPE_SE
	s_and_saveexec_b32 s2, s42
	s_cbranch_execz .LBB60_9
; %bb.23:                               ;   in Loop: Header=BB60_10 Depth=3
	v_mov_b32_e32 v0, 0
	v_dual_mov_b32 v1, 0 :: v_dual_mov_b32 v2, 0
	v_dual_mov_b32 v3, 0 :: v_dual_mov_b32 v4, v22
	s_mov_b32 s3, 0
.LBB60_24:                              ;   Parent Loop BB60_4 Depth=1
                                        ;     Parent Loop BB60_7 Depth=2
                                        ;       Parent Loop BB60_10 Depth=3
                                        ; =>      This Inner Loop Header: Depth=4
	s_wait_alu 0xfffe
	v_add_nc_u32_e32 v7, s3, v21
	s_addk_co_i32 s3, 0x80
	ds_load_b128 v[33:36], v4
	ds_load_b128 v[37:40], v7
	ds_load_b128 v[41:44], v4 offset:512
	ds_load_b128 v[45:48], v7 offset:16
	s_wait_alu 0xfffe
	s_cmp_eq_u32 s3, 0x200
	s_wait_dscnt 0x2
	v_mul_f64_e32 v[5:6], v[35:36], v[39:40]
	v_mul_f64_e32 v[17:18], v[33:34], v[39:40]
	s_wait_dscnt 0x0
	v_mul_f64_e32 v[55:56], v[43:44], v[47:48]
	v_mul_f64_e32 v[57:58], v[41:42], v[47:48]
	s_delay_alu instid0(VALU_DEP_4) | instskip(NEXT) | instid1(VALU_DEP_4)
	v_fma_f64 v[5:6], v[33:34], v[37:38], -v[5:6]
	v_fma_f64 v[17:18], v[35:36], v[37:38], v[17:18]
	ds_load_b128 v[33:36], v4 offset:1024
	ds_load_b128 v[37:40], v7 offset:32
	;; [unrolled: 1-line block ×4, first 2 shown]
	v_fma_f64 v[41:42], v[41:42], v[45:46], -v[55:56]
	v_fma_f64 v[43:44], v[43:44], v[45:46], v[57:58]
	s_wait_dscnt 0x2
	v_mul_f64_e32 v[59:60], v[35:36], v[39:40]
	v_mul_f64_e32 v[39:40], v[33:34], v[39:40]
	v_add_f64_e32 v[0:1], v[0:1], v[5:6]
	v_add_f64_e32 v[2:3], v[2:3], v[17:18]
	s_wait_dscnt 0x0
	v_mul_f64_e32 v[5:6], v[49:50], v[53:54]
	v_mul_f64_e32 v[17:18], v[47:48], v[53:54]
	v_fma_f64 v[45:46], v[33:34], v[37:38], -v[59:60]
	v_fma_f64 v[53:54], v[35:36], v[37:38], v[39:40]
	v_add_f64_e32 v[55:56], v[0:1], v[41:42]
	v_add_f64_e32 v[57:58], v[2:3], v[43:44]
	ds_load_b128 v[0:3], v4 offset:2048
	ds_load_b128 v[33:36], v7 offset:64
	;; [unrolled: 1-line block ×4, first 2 shown]
	v_fma_f64 v[5:6], v[47:48], v[51:52], -v[5:6]
	v_fma_f64 v[17:18], v[49:50], v[51:52], v[17:18]
	s_wait_dscnt 0x2
	v_mul_f64_e32 v[59:60], v[2:3], v[35:36]
	v_mul_f64_e32 v[35:36], v[0:1], v[35:36]
	s_wait_dscnt 0x0
	v_mul_f64_e32 v[51:52], v[39:40], v[43:44]
	v_add_f64_e32 v[45:46], v[55:56], v[45:46]
	v_add_f64_e32 v[47:48], v[57:58], v[53:54]
	v_mul_f64_e32 v[53:54], v[37:38], v[43:44]
	v_fma_f64 v[55:56], v[0:1], v[33:34], -v[59:60]
	v_fma_f64 v[57:58], v[2:3], v[33:34], v[35:36]
	v_fma_f64 v[37:38], v[37:38], v[41:42], -v[51:52]
	v_add_f64_e32 v[5:6], v[45:46], v[5:6]
	v_add_f64_e32 v[17:18], v[47:48], v[17:18]
	ds_load_b128 v[0:3], v4 offset:3072
	ds_load_b128 v[33:36], v7 offset:96
	;; [unrolled: 1-line block ×4, first 2 shown]
	v_fma_f64 v[39:40], v[39:40], v[41:42], v[53:54]
	v_add_nc_u32_e32 v4, 0x1000, v4
	s_wait_dscnt 0x2
	v_mul_f64_e32 v[59:60], v[2:3], v[35:36]
	v_mul_f64_e32 v[35:36], v[0:1], v[35:36]
	s_wait_dscnt 0x0
	v_mul_f64_e32 v[41:42], v[45:46], v[49:50]
	v_mul_f64_e32 v[49:50], v[43:44], v[49:50]
	v_add_f64_e32 v[5:6], v[5:6], v[55:56]
	v_add_f64_e32 v[17:18], v[17:18], v[57:58]
	v_fma_f64 v[0:1], v[0:1], v[33:34], -v[59:60]
	v_fma_f64 v[2:3], v[2:3], v[33:34], v[35:36]
	v_fma_f64 v[33:34], v[43:44], v[47:48], -v[41:42]
	v_fma_f64 v[35:36], v[45:46], v[47:48], v[49:50]
	v_add_f64_e32 v[5:6], v[5:6], v[37:38]
	v_add_f64_e32 v[17:18], v[17:18], v[39:40]
	s_delay_alu instid0(VALU_DEP_2) | instskip(NEXT) | instid1(VALU_DEP_2)
	v_add_f64_e32 v[0:1], v[5:6], v[0:1]
	v_add_f64_e32 v[2:3], v[17:18], v[2:3]
	s_delay_alu instid0(VALU_DEP_2) | instskip(NEXT) | instid1(VALU_DEP_2)
	v_add_f64_e32 v[0:1], v[0:1], v[33:34]
	v_add_f64_e32 v[2:3], v[2:3], v[35:36]
	s_cbranch_scc0 .LBB60_24
; %bb.25:                               ;   in Loop: Header=BB60_10 Depth=3
	flat_load_b128 v[4:7], v[15:16]
	v_mul_f64_e32 v[17:18], s[14:15], v[2:3]
	v_mul_f64_e32 v[33:34], s[14:15], v[0:1]
	s_delay_alu instid0(VALU_DEP_2) | instskip(NEXT) | instid1(VALU_DEP_2)
	v_fma_f64 v[0:1], s[12:13], v[0:1], -v[17:18]
	v_fma_f64 v[2:3], s[12:13], v[2:3], v[33:34]
	s_wait_loadcnt_dscnt 0x0
	s_delay_alu instid0(VALU_DEP_2) | instskip(NEXT) | instid1(VALU_DEP_2)
	v_add_f64_e32 v[0:1], v[0:1], v[4:5]
	v_add_f64_e32 v[2:3], v[2:3], v[6:7]
	flat_store_b128 v[15:16], v[0:3]
	s_branch .LBB60_9
.LBB60_26:
	s_endpgm
	.section	.rodata,"a",@progbits
	.p2align	6, 0x0
	.amdhsa_kernel _ZL24rocblas_symm_hemm_kernelILb1ELb0ELi32EPK19rocblas_complex_numIdEPKS3_PKPS1_EvbiiT2_T3_lllSA_lllT4_llli
		.amdhsa_group_segment_fixed_size 32768
		.amdhsa_private_segment_fixed_size 0
		.amdhsa_kernarg_size 384
		.amdhsa_user_sgpr_count 2
		.amdhsa_user_sgpr_dispatch_ptr 0
		.amdhsa_user_sgpr_queue_ptr 0
		.amdhsa_user_sgpr_kernarg_segment_ptr 1
		.amdhsa_user_sgpr_dispatch_id 0
		.amdhsa_user_sgpr_private_segment_size 0
		.amdhsa_wavefront_size32 1
		.amdhsa_uses_dynamic_stack 0
		.amdhsa_enable_private_segment 0
		.amdhsa_system_sgpr_workgroup_id_x 1
		.amdhsa_system_sgpr_workgroup_id_y 1
		.amdhsa_system_sgpr_workgroup_id_z 1
		.amdhsa_system_sgpr_workgroup_info 0
		.amdhsa_system_vgpr_workitem_id 1
		.amdhsa_next_free_vgpr 61
		.amdhsa_next_free_sgpr 46
		.amdhsa_reserve_vcc 1
		.amdhsa_float_round_mode_32 0
		.amdhsa_float_round_mode_16_64 0
		.amdhsa_float_denorm_mode_32 3
		.amdhsa_float_denorm_mode_16_64 3
		.amdhsa_fp16_overflow 0
		.amdhsa_workgroup_processor_mode 1
		.amdhsa_memory_ordered 1
		.amdhsa_forward_progress 1
		.amdhsa_inst_pref_size 15
		.amdhsa_round_robin_scheduling 0
		.amdhsa_exception_fp_ieee_invalid_op 0
		.amdhsa_exception_fp_denorm_src 0
		.amdhsa_exception_fp_ieee_div_zero 0
		.amdhsa_exception_fp_ieee_overflow 0
		.amdhsa_exception_fp_ieee_underflow 0
		.amdhsa_exception_fp_ieee_inexact 0
		.amdhsa_exception_int_div_zero 0
	.end_amdhsa_kernel
	.section	.text._ZL24rocblas_symm_hemm_kernelILb1ELb0ELi32EPK19rocblas_complex_numIdEPKS3_PKPS1_EvbiiT2_T3_lllSA_lllT4_llli,"axG",@progbits,_ZL24rocblas_symm_hemm_kernelILb1ELb0ELi32EPK19rocblas_complex_numIdEPKS3_PKPS1_EvbiiT2_T3_lllSA_lllT4_llli,comdat
.Lfunc_end60:
	.size	_ZL24rocblas_symm_hemm_kernelILb1ELb0ELi32EPK19rocblas_complex_numIdEPKS3_PKPS1_EvbiiT2_T3_lllSA_lllT4_llli, .Lfunc_end60-_ZL24rocblas_symm_hemm_kernelILb1ELb0ELi32EPK19rocblas_complex_numIdEPKS3_PKPS1_EvbiiT2_T3_lllSA_lllT4_llli
                                        ; -- End function
	.set _ZL24rocblas_symm_hemm_kernelILb1ELb0ELi32EPK19rocblas_complex_numIdEPKS3_PKPS1_EvbiiT2_T3_lllSA_lllT4_llli.num_vgpr, 61
	.set _ZL24rocblas_symm_hemm_kernelILb1ELb0ELi32EPK19rocblas_complex_numIdEPKS3_PKPS1_EvbiiT2_T3_lllSA_lllT4_llli.num_agpr, 0
	.set _ZL24rocblas_symm_hemm_kernelILb1ELb0ELi32EPK19rocblas_complex_numIdEPKS3_PKPS1_EvbiiT2_T3_lllSA_lllT4_llli.numbered_sgpr, 46
	.set _ZL24rocblas_symm_hemm_kernelILb1ELb0ELi32EPK19rocblas_complex_numIdEPKS3_PKPS1_EvbiiT2_T3_lllSA_lllT4_llli.num_named_barrier, 0
	.set _ZL24rocblas_symm_hemm_kernelILb1ELb0ELi32EPK19rocblas_complex_numIdEPKS3_PKPS1_EvbiiT2_T3_lllSA_lllT4_llli.private_seg_size, 0
	.set _ZL24rocblas_symm_hemm_kernelILb1ELb0ELi32EPK19rocblas_complex_numIdEPKS3_PKPS1_EvbiiT2_T3_lllSA_lllT4_llli.uses_vcc, 1
	.set _ZL24rocblas_symm_hemm_kernelILb1ELb0ELi32EPK19rocblas_complex_numIdEPKS3_PKPS1_EvbiiT2_T3_lllSA_lllT4_llli.uses_flat_scratch, 0
	.set _ZL24rocblas_symm_hemm_kernelILb1ELb0ELi32EPK19rocblas_complex_numIdEPKS3_PKPS1_EvbiiT2_T3_lllSA_lllT4_llli.has_dyn_sized_stack, 0
	.set _ZL24rocblas_symm_hemm_kernelILb1ELb0ELi32EPK19rocblas_complex_numIdEPKS3_PKPS1_EvbiiT2_T3_lllSA_lllT4_llli.has_recursion, 0
	.set _ZL24rocblas_symm_hemm_kernelILb1ELb0ELi32EPK19rocblas_complex_numIdEPKS3_PKPS1_EvbiiT2_T3_lllSA_lllT4_llli.has_indirect_call, 0
	.section	.AMDGPU.csdata,"",@progbits
; Kernel info:
; codeLenInByte = 1844
; TotalNumSgprs: 48
; NumVgprs: 61
; ScratchSize: 0
; MemoryBound: 1
; FloatMode: 240
; IeeeMode: 1
; LDSByteSize: 32768 bytes/workgroup (compile time only)
; SGPRBlocks: 0
; VGPRBlocks: 7
; NumSGPRsForWavesPerEU: 48
; NumVGPRsForWavesPerEU: 61
; Occupancy: 16
; WaveLimiterHint : 1
; COMPUTE_PGM_RSRC2:SCRATCH_EN: 0
; COMPUTE_PGM_RSRC2:USER_SGPR: 2
; COMPUTE_PGM_RSRC2:TRAP_HANDLER: 0
; COMPUTE_PGM_RSRC2:TGID_X_EN: 1
; COMPUTE_PGM_RSRC2:TGID_Y_EN: 1
; COMPUTE_PGM_RSRC2:TGID_Z_EN: 1
; COMPUTE_PGM_RSRC2:TIDIG_COMP_CNT: 1
	.section	.text._ZL24rocblas_symm_hemm_kernelILb1ELb1ELi32EPK19rocblas_complex_numIdEPKS3_PKPS1_EvbiiT2_T3_lllSA_lllT4_llli,"axG",@progbits,_ZL24rocblas_symm_hemm_kernelILb1ELb1ELi32EPK19rocblas_complex_numIdEPKS3_PKPS1_EvbiiT2_T3_lllSA_lllT4_llli,comdat
	.globl	_ZL24rocblas_symm_hemm_kernelILb1ELb1ELi32EPK19rocblas_complex_numIdEPKS3_PKPS1_EvbiiT2_T3_lllSA_lllT4_llli ; -- Begin function _ZL24rocblas_symm_hemm_kernelILb1ELb1ELi32EPK19rocblas_complex_numIdEPKS3_PKPS1_EvbiiT2_T3_lllSA_lllT4_llli
	.p2align	8
	.type	_ZL24rocblas_symm_hemm_kernelILb1ELb1ELi32EPK19rocblas_complex_numIdEPKS3_PKPS1_EvbiiT2_T3_lllSA_lllT4_llli,@function
_ZL24rocblas_symm_hemm_kernelILb1ELb1ELi32EPK19rocblas_complex_numIdEPKS3_PKPS1_EvbiiT2_T3_lllSA_lllT4_llli: ; @_ZL24rocblas_symm_hemm_kernelILb1ELb1ELi32EPK19rocblas_complex_numIdEPKS3_PKPS1_EvbiiT2_T3_lllSA_lllT4_llli
; %bb.0:
	s_load_b256 s[4:11], s[0:1], 0x10
	s_wait_kmcnt 0x0
	s_load_b128 s[12:15], s[4:5], 0x0
	s_wait_kmcnt 0x0
	v_cmp_eq_f64_e64 s2, s[12:13], 0
	v_cmp_eq_f64_e64 s3, s[14:15], 0
	s_and_b32 s2, s2, s3
	s_delay_alu instid0(SALU_CYCLE_1)
	s_and_b32 vcc_lo, exec_lo, s2
	s_cbranch_vccnz .LBB61_26
; %bb.1:
	s_load_b32 s3, s[0:1], 0x78
	s_lshr_b32 s4, ttmp7, 16
	s_wait_kmcnt 0x0
	s_cmp_ge_u32 s4, s3
	s_cbranch_scc1 .LBB61_26
; %bb.2:
	s_clause 0x4
	s_load_b96 s[24:26], s[0:1], 0x0
	s_load_b128 s[16:19], s[0:1], 0x38
	s_load_b64 s[28:29], s[0:1], 0x68
	s_load_b64 s[30:31], s[0:1], 0x48
	s_load_b128 s[20:23], s[0:1], 0x58
	v_and_b32_e32 v18, 0x3ff, v0
	v_bfe_u32 v17, v0, 10, 10
	s_add_nc_u64 s[34:35], s[0:1], 0x80
	s_mov_b32 s5, 0
	s_delay_alu instid0(VALU_DEP_2) | instskip(NEXT) | instid1(VALU_DEP_2)
	v_lshl_add_u32 v0, ttmp9, 5, v18
	v_lshlrev_b32_e32 v2, 4, v17
	v_lshlrev_b32_e32 v19, 9, v18
	s_delay_alu instid0(VALU_DEP_3) | instskip(NEXT) | instid1(VALU_DEP_3)
	v_ashrrev_i32_e32 v1, 31, v0
	v_or_b32_e32 v20, 0x4000, v2
	s_delay_alu instid0(VALU_DEP_3) | instskip(NEXT) | instid1(VALU_DEP_3)
	v_add_nc_u32_e32 v21, v19, v2
	v_lshlrev_b64_e32 v[8:9], 4, v[0:1]
	s_wait_kmcnt 0x0
	s_bitcmp1_b32 s24, 0
	v_add_nc_u32_e32 v22, v20, v19
	s_cselect_b32 s0, -1, 0
	s_add_co_i32 s1, s26, -1
	s_wait_alu 0xfffe
	s_and_b32 s27, ttmp7, 0xffff
	s_ashr_i32 s2, s1, 31
	s_delay_alu instid0(SALU_CYCLE_1) | instskip(NEXT) | instid1(SALU_CYCLE_1)
	s_lshr_b32 s2, s2, 27
	s_add_co_i32 s1, s1, s2
	s_wait_alu 0xfffe
	s_ashr_i32 s33, s1, 5
	v_cmp_gt_i32_e64 s1, s25, v0
	s_cmp_le_i32 s27, s33
	s_cselect_b32 s36, -1, 0
	s_cmp_gt_i32 s26, 0
	s_cselect_b32 s37, -1, 0
	s_lshl_b64 s[8:9], s[8:9], 4
	s_lshl_b64 s[22:23], s[22:23], 4
	;; [unrolled: 1-line block ×3, first 2 shown]
	s_branch .LBB61_4
.LBB61_3:                               ;   in Loop: Header=BB61_4 Depth=1
	s_add_co_i32 s4, s4, 0x10000
	s_delay_alu instid0(SALU_CYCLE_1)
	s_cmp_lt_u32 s4, s3
	s_cbranch_scc0 .LBB61_26
.LBB61_4:                               ; =>This Loop Header: Depth=1
                                        ;     Child Loop BB61_7 Depth 2
                                        ;       Child Loop BB61_10 Depth 3
                                        ;         Child Loop BB61_24 Depth 4
	s_and_not1_b32 vcc_lo, exec_lo, s36
	s_wait_alu 0xfffe
	s_cbranch_vccnz .LBB61_3
; %bb.5:                                ;   in Loop: Header=BB61_4 Depth=1
	s_lshl_b64 s[24:25], s[4:5], 3
	s_wait_alu 0xfffe
	s_add_nc_u64 s[38:39], s[20:21], s[24:25]
	s_add_nc_u64 s[40:41], s[16:17], s[24:25]
	s_load_b64 s[42:43], s[38:39], 0x0
	s_load_b64 s[40:41], s[40:41], 0x0
	s_add_nc_u64 s[24:25], s[6:7], s[24:25]
	s_load_b64 s[24:25], s[24:25], 0x0
	s_load_b32 s38, s[34:35], 0x4
	s_mov_b32 s39, s27
	s_wait_kmcnt 0x0
	s_add_nc_u64 s[42:43], s[42:43], s[22:23]
	s_add_nc_u64 s[40:41], s[40:41], s[18:19]
	;; [unrolled: 1-line block ×3, first 2 shown]
	s_wait_alu 0xfffe
	v_add_co_u32 v23, vcc_lo, s40, v8
	s_wait_alu 0xfffd
	v_add_co_ci_u32_e64 v24, null, s41, v9, vcc_lo
	v_add_co_u32 v25, vcc_lo, s42, v8
	s_wait_alu 0xfffd
	v_add_co_ci_u32_e64 v26, null, s43, v9, vcc_lo
	s_branch .LBB61_7
.LBB61_6:                               ;   in Loop: Header=BB61_7 Depth=2
	s_add_co_i32 s39, s39, s38
	s_wait_alu 0xfffe
	s_cmp_gt_i32 s39, s33
	s_cbranch_scc1 .LBB61_3
.LBB61_7:                               ;   Parent Loop BB61_4 Depth=1
                                        ; =>  This Loop Header: Depth=2
                                        ;       Child Loop BB61_10 Depth 3
                                        ;         Child Loop BB61_24 Depth 4
	s_and_not1_b32 vcc_lo, exec_lo, s37
	s_wait_alu 0xfffe
	s_cbranch_vccnz .LBB61_6
; %bb.8:                                ;   in Loop: Header=BB61_7 Depth=2
	v_lshl_add_u32 v10, s39, 5, v17
	s_mov_b32 s41, 0
	s_delay_alu instid0(VALU_DEP_1) | instskip(SKIP_3) | instid1(VALU_DEP_4)
	v_ashrrev_i32_e32 v11, 31, v10
	v_mul_lo_u32 v4, s11, v10
	v_mad_co_u64_u32 v[0:1], null, s10, v10, 0
	v_mul_lo_u32 v6, s29, v10
	v_mul_lo_u32 v5, s10, v11
	v_mad_co_u64_u32 v[2:3], null, s28, v10, 0
	v_mul_lo_u32 v7, s28, v11
	v_cmp_gt_i32_e32 vcc_lo, s26, v10
	s_delay_alu instid0(VALU_DEP_4) | instskip(SKIP_2) | instid1(VALU_DEP_4)
	v_add3_u32 v1, v1, v5, v4
	v_lshlrev_b64_e32 v[4:5], 4, v[10:11]
	s_and_b32 s40, s1, vcc_lo
	v_add3_u32 v3, v3, v7, v6
	s_delay_alu instid0(VALU_DEP_3) | instskip(NEXT) | instid1(VALU_DEP_3)
	v_lshlrev_b64_e32 v[0:1], 4, v[0:1]
	v_add_co_u32 v27, s2, s24, v4
	s_delay_alu instid0(VALU_DEP_3) | instskip(SKIP_2) | instid1(VALU_DEP_4)
	v_lshlrev_b64_e32 v[2:3], 4, v[2:3]
	s_wait_alu 0xf1ff
	v_add_co_ci_u32_e64 v28, null, s25, v5, s2
	v_add_co_u32 v29, s2, s24, v0
	s_wait_alu 0xf1ff
	v_add_co_ci_u32_e64 v30, null, s25, v1, s2
	v_add_co_u32 v11, s2, v25, v2
	;; [unrolled: 3-line block ×3, first 2 shown]
	s_wait_alu 0xf1ff
	v_add_co_ci_u32_e64 v14, null, v30, v5, s2
	s_branch .LBB61_10
.LBB61_9:                               ;   in Loop: Header=BB61_10 Depth=3
	s_wait_alu 0xfffe
	s_or_b32 exec_lo, exec_lo, s2
	s_add_co_i32 s41, s41, 32
	s_wait_storecnt 0x0
	s_wait_loadcnt_dscnt 0x0
	s_wait_alu 0xfffe
	s_cmp_ge_i32 s41, s26
	s_barrier_signal -1
	s_barrier_wait -1
	global_inv scope:SCOPE_SE
	s_cbranch_scc1 .LBB61_6
.LBB61_10:                              ;   Parent Loop BB61_4 Depth=1
                                        ;     Parent Loop BB61_7 Depth=2
                                        ; =>    This Loop Header: Depth=3
                                        ;         Child Loop BB61_24 Depth 4
	s_wait_alu 0xfffe
	v_add_nc_u32_e32 v2, s41, v17
	v_mov_b32_e32 v0, 0
	v_dual_mov_b32 v1, 0 :: v_dual_mov_b32 v4, 0
	v_mov_b32_e32 v6, 0
	s_delay_alu instid0(VALU_DEP_4)
	v_cmp_gt_i32_e32 vcc_lo, s26, v2
	v_mov_b32_e32 v5, 0
	v_mov_b32_e32 v7, 0
	s_and_b32 s42, s1, vcc_lo
	s_wait_alu 0xfffe
	s_and_saveexec_b32 s2, s42
	s_cbranch_execz .LBB61_12
; %bb.11:                               ;   in Loop: Header=BB61_10 Depth=3
	v_ashrrev_i32_e32 v4, 31, v2
	v_mul_lo_u32 v5, s31, v2
	v_mad_co_u64_u32 v[2:3], null, s30, v2, 0
	s_delay_alu instid0(VALU_DEP_3) | instskip(NEXT) | instid1(VALU_DEP_1)
	v_mul_lo_u32 v4, s30, v4
	v_add3_u32 v3, v3, v4, v5
	s_delay_alu instid0(VALU_DEP_1) | instskip(NEXT) | instid1(VALU_DEP_1)
	v_lshlrev_b64_e32 v[2:3], 4, v[2:3]
	v_add_co_u32 v2, vcc_lo, v23, v2
	s_wait_alu 0xfffd
	s_delay_alu instid0(VALU_DEP_2)
	v_add_co_ci_u32_e64 v3, null, v24, v3, vcc_lo
	flat_load_b128 v[4:7], v[2:3]
.LBB61_12:                              ;   in Loop: Header=BB61_10 Depth=3
	s_wait_alu 0xfffe
	s_or_b32 exec_lo, exec_lo, s2
	v_add_nc_u32_e32 v15, s41, v18
	s_mov_b32 s42, exec_lo
	s_wait_loadcnt_dscnt 0x0
	ds_store_b128 v21, v[4:7]
	v_cndmask_b32_e64 v2, v10, v15, s0
	v_cndmask_b32_e64 v3, v15, v10, s0
	s_delay_alu instid0(VALU_DEP_1)
	v_cmp_gt_i32_e32 vcc_lo, v2, v3
	s_wait_alu 0xfffd
	v_dual_cndmask_b32 v16, v15, v10 :: v_dual_cndmask_b32 v31, v10, v15
	v_cmp_le_i32_e32 vcc_lo, v2, v3
	v_mov_b32_e32 v2, 0
	v_mov_b32_e32 v3, 0
	s_delay_alu instid0(VALU_DEP_4) | instskip(NEXT) | instid1(VALU_DEP_1)
	v_max_i32_e32 v16, v16, v31
	v_cmpx_gt_i32_e64 s26, v16
	s_cbranch_execz .LBB61_22
; %bb.13:                               ;   in Loop: Header=BB61_10 Depth=3
                                        ; implicit-def: $vgpr2_vgpr3
	s_and_saveexec_b32 s2, vcc_lo
	s_wait_alu 0xfffe
	s_xor_b32 s2, exec_lo, s2
	s_cbranch_execz .LBB61_19
; %bb.14:                               ;   in Loop: Header=BB61_10 Depth=3
	s_mov_b32 s43, exec_lo
                                        ; implicit-def: $vgpr2_vgpr3
	v_cmpx_ne_u32_e64 v15, v10
	s_wait_alu 0xfffe
	s_xor_b32 s43, exec_lo, s43
	s_cbranch_execz .LBB61_16
; %bb.15:                               ;   in Loop: Header=BB61_10 Depth=3
	v_ashrrev_i32_e32 v16, 31, v15
	s_delay_alu instid0(VALU_DEP_1) | instskip(NEXT) | instid1(VALU_DEP_1)
	v_lshlrev_b64_e32 v[0:1], 4, v[15:16]
	v_add_co_u32 v0, vcc_lo, v29, v0
	s_wait_alu 0xfffd
	s_delay_alu instid0(VALU_DEP_2)
	v_add_co_ci_u32_e64 v1, null, v30, v1, vcc_lo
	flat_load_b128 v[0:3], v[0:1]
.LBB61_16:                              ;   in Loop: Header=BB61_10 Depth=3
	s_wait_alu 0xfffe
	s_and_not1_saveexec_b32 s43, s43
	s_cbranch_execz .LBB61_18
; %bb.17:                               ;   in Loop: Header=BB61_10 Depth=3
	s_wait_loadcnt_dscnt 0x0
	flat_load_b64 v[0:1], v[13:14]
	v_mov_b32_e32 v2, 0
	v_mov_b32_e32 v3, 0
.LBB61_18:                              ;   in Loop: Header=BB61_10 Depth=3
	s_wait_alu 0xfffe
	s_or_b32 exec_lo, exec_lo, s43
                                        ; implicit-def: $vgpr15
.LBB61_19:                              ;   in Loop: Header=BB61_10 Depth=3
	s_wait_alu 0xfffe
	s_and_not1_saveexec_b32 s2, s2
	s_cbranch_execz .LBB61_21
; %bb.20:                               ;   in Loop: Header=BB61_10 Depth=3
	s_wait_loadcnt_dscnt 0x0
	v_ashrrev_i32_e32 v2, 31, v15
	v_mul_lo_u32 v3, s11, v15
	v_mad_co_u64_u32 v[0:1], null, s10, v15, 0
	s_delay_alu instid0(VALU_DEP_3) | instskip(NEXT) | instid1(VALU_DEP_1)
	v_mul_lo_u32 v2, s10, v2
	v_add3_u32 v1, v1, v2, v3
	s_delay_alu instid0(VALU_DEP_1) | instskip(NEXT) | instid1(VALU_DEP_1)
	v_lshlrev_b64_e32 v[0:1], 4, v[0:1]
	v_add_co_u32 v0, vcc_lo, v27, v0
	s_wait_alu 0xfffd
	s_delay_alu instid0(VALU_DEP_2)
	v_add_co_ci_u32_e64 v1, null, v28, v1, vcc_lo
	flat_load_b128 v[0:3], v[0:1]
	s_wait_loadcnt_dscnt 0x0
	v_xor_b32_e32 v3, 0x80000000, v3
.LBB61_21:                              ;   in Loop: Header=BB61_10 Depth=3
	s_wait_alu 0xfffe
	s_or_b32 exec_lo, exec_lo, s2
.LBB61_22:                              ;   in Loop: Header=BB61_10 Depth=3
	s_wait_alu 0xfffe
	s_or_b32 exec_lo, exec_lo, s42
	s_wait_loadcnt_dscnt 0x0
	ds_store_b128 v22, v[0:3]
	s_wait_dscnt 0x0
	s_barrier_signal -1
	s_barrier_wait -1
	global_inv scope:SCOPE_SE
	s_and_saveexec_b32 s2, s40
	s_cbranch_execz .LBB61_9
; %bb.23:                               ;   in Loop: Header=BB61_10 Depth=3
	v_mov_b32_e32 v0, 0
	v_dual_mov_b32 v1, 0 :: v_dual_mov_b32 v2, 0
	v_dual_mov_b32 v3, 0 :: v_dual_mov_b32 v4, v20
	s_mov_b32 s42, 0
.LBB61_24:                              ;   Parent Loop BB61_4 Depth=1
                                        ;     Parent Loop BB61_7 Depth=2
                                        ;       Parent Loop BB61_10 Depth=3
                                        ; =>      This Inner Loop Header: Depth=4
	s_wait_alu 0xfffe
	v_add_nc_u32_e32 v7, s42, v19
	s_addk_co_i32 s42, 0x80
	ds_load_b128 v[31:34], v4
	ds_load_b128 v[35:38], v7
	ds_load_b128 v[39:42], v4 offset:512
	ds_load_b128 v[43:46], v7 offset:16
	s_wait_alu 0xfffe
	s_cmp_eq_u32 s42, 0x200
	s_wait_dscnt 0x2
	v_mul_f64_e32 v[5:6], v[33:34], v[37:38]
	v_mul_f64_e32 v[15:16], v[31:32], v[37:38]
	s_wait_dscnt 0x0
	v_mul_f64_e32 v[53:54], v[41:42], v[45:46]
	v_mul_f64_e32 v[55:56], v[39:40], v[45:46]
	s_delay_alu instid0(VALU_DEP_4) | instskip(NEXT) | instid1(VALU_DEP_4)
	v_fma_f64 v[5:6], v[31:32], v[35:36], -v[5:6]
	v_fma_f64 v[15:16], v[33:34], v[35:36], v[15:16]
	ds_load_b128 v[31:34], v4 offset:1024
	ds_load_b128 v[35:38], v7 offset:32
	;; [unrolled: 1-line block ×4, first 2 shown]
	v_fma_f64 v[39:40], v[39:40], v[43:44], -v[53:54]
	v_fma_f64 v[41:42], v[41:42], v[43:44], v[55:56]
	s_wait_dscnt 0x2
	v_mul_f64_e32 v[57:58], v[33:34], v[37:38]
	v_mul_f64_e32 v[37:38], v[31:32], v[37:38]
	v_add_f64_e32 v[0:1], v[0:1], v[5:6]
	v_add_f64_e32 v[2:3], v[2:3], v[15:16]
	s_wait_dscnt 0x0
	v_mul_f64_e32 v[5:6], v[47:48], v[51:52]
	v_mul_f64_e32 v[15:16], v[45:46], v[51:52]
	v_fma_f64 v[43:44], v[31:32], v[35:36], -v[57:58]
	v_fma_f64 v[51:52], v[33:34], v[35:36], v[37:38]
	v_add_f64_e32 v[53:54], v[0:1], v[39:40]
	v_add_f64_e32 v[55:56], v[2:3], v[41:42]
	ds_load_b128 v[0:3], v4 offset:2048
	ds_load_b128 v[31:34], v7 offset:64
	;; [unrolled: 1-line block ×4, first 2 shown]
	v_fma_f64 v[5:6], v[45:46], v[49:50], -v[5:6]
	v_fma_f64 v[15:16], v[47:48], v[49:50], v[15:16]
	s_wait_dscnt 0x2
	v_mul_f64_e32 v[57:58], v[2:3], v[33:34]
	v_mul_f64_e32 v[33:34], v[0:1], v[33:34]
	s_wait_dscnt 0x0
	v_mul_f64_e32 v[49:50], v[37:38], v[41:42]
	v_add_f64_e32 v[43:44], v[53:54], v[43:44]
	v_add_f64_e32 v[45:46], v[55:56], v[51:52]
	v_mul_f64_e32 v[51:52], v[35:36], v[41:42]
	v_fma_f64 v[53:54], v[0:1], v[31:32], -v[57:58]
	v_fma_f64 v[55:56], v[2:3], v[31:32], v[33:34]
	v_fma_f64 v[35:36], v[35:36], v[39:40], -v[49:50]
	v_add_f64_e32 v[5:6], v[43:44], v[5:6]
	v_add_f64_e32 v[15:16], v[45:46], v[15:16]
	ds_load_b128 v[0:3], v4 offset:3072
	ds_load_b128 v[31:34], v7 offset:96
	;; [unrolled: 1-line block ×4, first 2 shown]
	v_fma_f64 v[37:38], v[37:38], v[39:40], v[51:52]
	v_add_nc_u32_e32 v4, 0x1000, v4
	s_wait_dscnt 0x2
	v_mul_f64_e32 v[57:58], v[2:3], v[33:34]
	v_mul_f64_e32 v[33:34], v[0:1], v[33:34]
	s_wait_dscnt 0x0
	v_mul_f64_e32 v[39:40], v[43:44], v[47:48]
	v_mul_f64_e32 v[47:48], v[41:42], v[47:48]
	v_add_f64_e32 v[5:6], v[5:6], v[53:54]
	v_add_f64_e32 v[15:16], v[15:16], v[55:56]
	v_fma_f64 v[0:1], v[0:1], v[31:32], -v[57:58]
	v_fma_f64 v[2:3], v[2:3], v[31:32], v[33:34]
	v_fma_f64 v[31:32], v[41:42], v[45:46], -v[39:40]
	v_fma_f64 v[33:34], v[43:44], v[45:46], v[47:48]
	v_add_f64_e32 v[5:6], v[5:6], v[35:36]
	v_add_f64_e32 v[15:16], v[15:16], v[37:38]
	s_delay_alu instid0(VALU_DEP_2) | instskip(NEXT) | instid1(VALU_DEP_2)
	v_add_f64_e32 v[0:1], v[5:6], v[0:1]
	v_add_f64_e32 v[2:3], v[15:16], v[2:3]
	s_delay_alu instid0(VALU_DEP_2) | instskip(NEXT) | instid1(VALU_DEP_2)
	v_add_f64_e32 v[0:1], v[0:1], v[31:32]
	v_add_f64_e32 v[2:3], v[2:3], v[33:34]
	s_cbranch_scc0 .LBB61_24
; %bb.25:                               ;   in Loop: Header=BB61_10 Depth=3
	flat_load_b128 v[4:7], v[11:12]
	v_mul_f64_e32 v[15:16], s[14:15], v[2:3]
	v_mul_f64_e32 v[31:32], s[14:15], v[0:1]
	s_delay_alu instid0(VALU_DEP_2) | instskip(NEXT) | instid1(VALU_DEP_2)
	v_fma_f64 v[0:1], s[12:13], v[0:1], -v[15:16]
	v_fma_f64 v[2:3], s[12:13], v[2:3], v[31:32]
	s_wait_loadcnt_dscnt 0x0
	s_delay_alu instid0(VALU_DEP_2) | instskip(NEXT) | instid1(VALU_DEP_2)
	v_add_f64_e32 v[0:1], v[0:1], v[4:5]
	v_add_f64_e32 v[2:3], v[2:3], v[6:7]
	flat_store_b128 v[11:12], v[0:3]
	s_branch .LBB61_9
.LBB61_26:
	s_endpgm
	.section	.rodata,"a",@progbits
	.p2align	6, 0x0
	.amdhsa_kernel _ZL24rocblas_symm_hemm_kernelILb1ELb1ELi32EPK19rocblas_complex_numIdEPKS3_PKPS1_EvbiiT2_T3_lllSA_lllT4_llli
		.amdhsa_group_segment_fixed_size 32768
		.amdhsa_private_segment_fixed_size 0
		.amdhsa_kernarg_size 384
		.amdhsa_user_sgpr_count 2
		.amdhsa_user_sgpr_dispatch_ptr 0
		.amdhsa_user_sgpr_queue_ptr 0
		.amdhsa_user_sgpr_kernarg_segment_ptr 1
		.amdhsa_user_sgpr_dispatch_id 0
		.amdhsa_user_sgpr_private_segment_size 0
		.amdhsa_wavefront_size32 1
		.amdhsa_uses_dynamic_stack 0
		.amdhsa_enable_private_segment 0
		.amdhsa_system_sgpr_workgroup_id_x 1
		.amdhsa_system_sgpr_workgroup_id_y 1
		.amdhsa_system_sgpr_workgroup_id_z 1
		.amdhsa_system_sgpr_workgroup_info 0
		.amdhsa_system_vgpr_workitem_id 1
		.amdhsa_next_free_vgpr 59
		.amdhsa_next_free_sgpr 44
		.amdhsa_reserve_vcc 1
		.amdhsa_float_round_mode_32 0
		.amdhsa_float_round_mode_16_64 0
		.amdhsa_float_denorm_mode_32 3
		.amdhsa_float_denorm_mode_16_64 3
		.amdhsa_fp16_overflow 0
		.amdhsa_workgroup_processor_mode 1
		.amdhsa_memory_ordered 1
		.amdhsa_forward_progress 1
		.amdhsa_inst_pref_size 15
		.amdhsa_round_robin_scheduling 0
		.amdhsa_exception_fp_ieee_invalid_op 0
		.amdhsa_exception_fp_denorm_src 0
		.amdhsa_exception_fp_ieee_div_zero 0
		.amdhsa_exception_fp_ieee_overflow 0
		.amdhsa_exception_fp_ieee_underflow 0
		.amdhsa_exception_fp_ieee_inexact 0
		.amdhsa_exception_int_div_zero 0
	.end_amdhsa_kernel
	.section	.text._ZL24rocblas_symm_hemm_kernelILb1ELb1ELi32EPK19rocblas_complex_numIdEPKS3_PKPS1_EvbiiT2_T3_lllSA_lllT4_llli,"axG",@progbits,_ZL24rocblas_symm_hemm_kernelILb1ELb1ELi32EPK19rocblas_complex_numIdEPKS3_PKPS1_EvbiiT2_T3_lllSA_lllT4_llli,comdat
.Lfunc_end61:
	.size	_ZL24rocblas_symm_hemm_kernelILb1ELb1ELi32EPK19rocblas_complex_numIdEPKS3_PKPS1_EvbiiT2_T3_lllSA_lllT4_llli, .Lfunc_end61-_ZL24rocblas_symm_hemm_kernelILb1ELb1ELi32EPK19rocblas_complex_numIdEPKS3_PKPS1_EvbiiT2_T3_lllSA_lllT4_llli
                                        ; -- End function
	.set _ZL24rocblas_symm_hemm_kernelILb1ELb1ELi32EPK19rocblas_complex_numIdEPKS3_PKPS1_EvbiiT2_T3_lllSA_lllT4_llli.num_vgpr, 59
	.set _ZL24rocblas_symm_hemm_kernelILb1ELb1ELi32EPK19rocblas_complex_numIdEPKS3_PKPS1_EvbiiT2_T3_lllSA_lllT4_llli.num_agpr, 0
	.set _ZL24rocblas_symm_hemm_kernelILb1ELb1ELi32EPK19rocblas_complex_numIdEPKS3_PKPS1_EvbiiT2_T3_lllSA_lllT4_llli.numbered_sgpr, 44
	.set _ZL24rocblas_symm_hemm_kernelILb1ELb1ELi32EPK19rocblas_complex_numIdEPKS3_PKPS1_EvbiiT2_T3_lllSA_lllT4_llli.num_named_barrier, 0
	.set _ZL24rocblas_symm_hemm_kernelILb1ELb1ELi32EPK19rocblas_complex_numIdEPKS3_PKPS1_EvbiiT2_T3_lllSA_lllT4_llli.private_seg_size, 0
	.set _ZL24rocblas_symm_hemm_kernelILb1ELb1ELi32EPK19rocblas_complex_numIdEPKS3_PKPS1_EvbiiT2_T3_lllSA_lllT4_llli.uses_vcc, 1
	.set _ZL24rocblas_symm_hemm_kernelILb1ELb1ELi32EPK19rocblas_complex_numIdEPKS3_PKPS1_EvbiiT2_T3_lllSA_lllT4_llli.uses_flat_scratch, 0
	.set _ZL24rocblas_symm_hemm_kernelILb1ELb1ELi32EPK19rocblas_complex_numIdEPKS3_PKPS1_EvbiiT2_T3_lllSA_lllT4_llli.has_dyn_sized_stack, 0
	.set _ZL24rocblas_symm_hemm_kernelILb1ELb1ELi32EPK19rocblas_complex_numIdEPKS3_PKPS1_EvbiiT2_T3_lllSA_lllT4_llli.has_recursion, 0
	.set _ZL24rocblas_symm_hemm_kernelILb1ELb1ELi32EPK19rocblas_complex_numIdEPKS3_PKPS1_EvbiiT2_T3_lllSA_lllT4_llli.has_indirect_call, 0
	.section	.AMDGPU.csdata,"",@progbits
; Kernel info:
; codeLenInByte = 1832
; TotalNumSgprs: 46
; NumVgprs: 59
; ScratchSize: 0
; MemoryBound: 1
; FloatMode: 240
; IeeeMode: 1
; LDSByteSize: 32768 bytes/workgroup (compile time only)
; SGPRBlocks: 0
; VGPRBlocks: 7
; NumSGPRsForWavesPerEU: 46
; NumVGPRsForWavesPerEU: 59
; Occupancy: 16
; WaveLimiterHint : 1
; COMPUTE_PGM_RSRC2:SCRATCH_EN: 0
; COMPUTE_PGM_RSRC2:USER_SGPR: 2
; COMPUTE_PGM_RSRC2:TRAP_HANDLER: 0
; COMPUTE_PGM_RSRC2:TGID_X_EN: 1
; COMPUTE_PGM_RSRC2:TGID_Y_EN: 1
; COMPUTE_PGM_RSRC2:TGID_Z_EN: 1
; COMPUTE_PGM_RSRC2:TIDIG_COMP_CNT: 1
	.section	.text._ZL24rocblas_symm_hemm_kernelILb1ELb0ELi32E19rocblas_complex_numIdEPKPKS1_PKPS1_EvbiiT2_T3_lllSA_lllT4_llli,"axG",@progbits,_ZL24rocblas_symm_hemm_kernelILb1ELb0ELi32E19rocblas_complex_numIdEPKPKS1_PKPS1_EvbiiT2_T3_lllSA_lllT4_llli,comdat
	.globl	_ZL24rocblas_symm_hemm_kernelILb1ELb0ELi32E19rocblas_complex_numIdEPKPKS1_PKPS1_EvbiiT2_T3_lllSA_lllT4_llli ; -- Begin function _ZL24rocblas_symm_hemm_kernelILb1ELb0ELi32E19rocblas_complex_numIdEPKPKS1_PKPS1_EvbiiT2_T3_lllSA_lllT4_llli
	.p2align	8
	.type	_ZL24rocblas_symm_hemm_kernelILb1ELb0ELi32E19rocblas_complex_numIdEPKPKS1_PKPS1_EvbiiT2_T3_lllSA_lllT4_llli,@function
_ZL24rocblas_symm_hemm_kernelILb1ELb0ELi32E19rocblas_complex_numIdEPKPKS1_PKPS1_EvbiiT2_T3_lllSA_lllT4_llli: ; @_ZL24rocblas_symm_hemm_kernelILb1ELb0ELi32E19rocblas_complex_numIdEPKPKS1_PKPS1_EvbiiT2_T3_lllSA_lllT4_llli
; %bb.0:
	s_load_b256 s[4:11], s[0:1], 0x10
	s_wait_kmcnt 0x0
	v_cmp_eq_f64_e64 s2, s[4:5], 0
	v_cmp_eq_f64_e64 s3, s[6:7], 0
	s_and_b32 s2, s2, s3
	s_delay_alu instid0(SALU_CYCLE_1)
	s_and_b32 vcc_lo, exec_lo, s2
	s_cbranch_vccnz .LBB62_26
; %bb.1:
	s_load_b32 s23, s[0:1], 0x80
	s_lshr_b32 s24, ttmp7, 16
	s_wait_kmcnt 0x0
	s_cmp_ge_u32 s24, s23
	s_cbranch_scc1 .LBB62_26
; %bb.2:
	s_clause 0x1
	s_load_b96 s[20:22], s[0:1], 0x0
	s_load_b64 s[26:27], s[0:1], 0x30
	v_and_b32_e32 v19, 0x3ff, v0
	v_bfe_u32 v20, v0, 10, 10
	s_clause 0x3
	s_load_b64 s[28:29], s[0:1], 0x50
	s_load_b128 s[12:15], s[0:1], 0x40
	s_load_b64 s[30:31], s[0:1], 0x70
	s_load_b128 s[16:19], s[0:1], 0x60
	s_add_nc_u64 s[34:35], s[0:1], 0x88
	v_lshl_add_u32 v8, ttmp9, 5, v19
	v_lshlrev_b32_e32 v21, 9, v19
	v_lshlrev_b32_e32 v0, 4, v20
	s_mov_b32 s25, 0
	s_delay_alu instid0(VALU_DEP_3) | instskip(NEXT) | instid1(VALU_DEP_2)
	v_ashrrev_i32_e32 v9, 31, v8
	v_add_nc_u32_e32 v22, v21, v0
	v_or_b32_e32 v23, 0x4000, v0
	s_delay_alu instid0(VALU_DEP_1)
	v_add_nc_u32_e32 v24, v23, v21
	s_wait_kmcnt 0x0
	v_mul_lo_u32 v2, s26, v9
	v_mul_lo_u32 v3, s27, v8
	v_mad_co_u64_u32 v[0:1], null, s26, v8, 0
	s_bitcmp1_b32 s20, 0
	v_lshlrev_b64_e32 v[9:10], 4, v[8:9]
	s_cselect_b32 s0, -1, 0
	s_add_co_i32 s1, s22, -1
	s_wait_alu 0xfffe
	s_and_b32 s20, ttmp7, 0xffff
	s_ashr_i32 s2, s1, 31
	v_add3_u32 v1, v1, v2, v3
	s_lshr_b32 s2, s2, 27
	s_delay_alu instid0(SALU_CYCLE_1)
	s_add_co_i32 s1, s1, s2
	s_wait_alu 0xfffe
	s_ashr_i32 s33, s1, 5
	v_lshlrev_b64_e32 v[11:12], 4, v[0:1]
	s_cmp_le_i32 s20, s33
	v_cmp_gt_i32_e64 s1, s21, v8
	s_cselect_b32 s38, -1, 0
	s_cmp_gt_i32 s21, 0
	s_cselect_b32 s39, -1, 0
	s_lshl_b64 s[14:15], s[14:15], 4
	s_lshl_b64 s[18:19], s[18:19], 4
	;; [unrolled: 1-line block ×3, first 2 shown]
	s_branch .LBB62_4
.LBB62_3:                               ;   in Loop: Header=BB62_4 Depth=1
	s_add_co_i32 s24, s24, 0x10000
	s_delay_alu instid0(SALU_CYCLE_1)
	s_cmp_lt_u32 s24, s23
	s_cbranch_scc0 .LBB62_26
.LBB62_4:                               ; =>This Loop Header: Depth=1
                                        ;     Child Loop BB62_7 Depth 2
                                        ;       Child Loop BB62_10 Depth 3
                                        ;         Child Loop BB62_24 Depth 4
	s_and_not1_b32 vcc_lo, exec_lo, s38
	s_wait_alu 0xfffe
	s_cbranch_vccnz .LBB62_3
; %bb.5:                                ;   in Loop: Header=BB62_4 Depth=1
	s_lshl_b64 s[2:3], s[24:25], 3
	s_wait_alu 0xfffe
	s_add_nc_u64 s[36:37], s[16:17], s[2:3]
	s_add_nc_u64 s[40:41], s[8:9], s[2:3]
	s_load_b64 s[36:37], s[36:37], 0x0
	s_load_b64 s[42:43], s[40:41], 0x0
	s_add_nc_u64 s[2:3], s[12:13], s[2:3]
	s_load_b32 s40, s[34:35], 0x4
	s_load_b64 s[2:3], s[2:3], 0x0
	s_mov_b32 s41, s20
	s_wait_kmcnt 0x0
	s_add_nc_u64 s[36:37], s[36:37], s[18:19]
	s_add_nc_u64 s[42:43], s[42:43], s[10:11]
	s_wait_alu 0xfffe
	v_add_co_u32 v25, vcc_lo, s42, v9
	s_wait_alu 0xfffd
	v_add_co_ci_u32_e64 v26, null, s43, v10, vcc_lo
	v_add_co_u32 v27, vcc_lo, s42, v11
	s_wait_alu 0xfffd
	v_add_co_ci_u32_e64 v28, null, s43, v12, vcc_lo
	;; [unrolled: 3-line block ×4, first 2 shown]
	s_add_nc_u64 s[36:37], s[2:3], s[14:15]
	s_branch .LBB62_7
.LBB62_6:                               ;   in Loop: Header=BB62_7 Depth=2
	s_add_co_i32 s41, s41, s40
	s_wait_alu 0xfffe
	s_cmp_gt_i32 s41, s33
	s_cbranch_scc1 .LBB62_3
.LBB62_7:                               ;   Parent Loop BB62_4 Depth=1
                                        ; =>  This Loop Header: Depth=2
                                        ;       Child Loop BB62_10 Depth 3
                                        ;         Child Loop BB62_24 Depth 4
	s_and_not1_b32 vcc_lo, exec_lo, s39
	s_wait_alu 0xfffe
	s_cbranch_vccnz .LBB62_6
; %bb.8:                                ;   in Loop: Header=BB62_7 Depth=2
	v_lshl_add_u32 v4, s41, 5, v20
	s_mov_b32 s43, 0
	s_delay_alu instid0(VALU_DEP_1) | instskip(SKIP_3) | instid1(VALU_DEP_4)
	v_ashrrev_i32_e32 v5, 31, v4
	v_mul_lo_u32 v6, s29, v4
	v_mad_co_u64_u32 v[0:1], null, s28, v4, 0
	v_mul_lo_u32 v15, s31, v4
	v_mul_lo_u32 v7, s28, v5
	v_mad_co_u64_u32 v[2:3], null, s30, v4, 0
	v_mul_lo_u32 v5, s30, v5
	v_cmp_gt_i32_e32 vcc_lo, s22, v4
	s_delay_alu instid0(VALU_DEP_4) | instskip(SKIP_1) | instid1(VALU_DEP_3)
	v_add3_u32 v1, v1, v7, v6
	s_and_b32 s42, s1, vcc_lo
	v_add3_u32 v3, v3, v5, v15
	s_delay_alu instid0(VALU_DEP_2) | instskip(NEXT) | instid1(VALU_DEP_2)
	v_lshlrev_b64_e32 v[0:1], 4, v[0:1]
	v_lshlrev_b64_e32 v[2:3], 4, v[2:3]
	s_delay_alu instid0(VALU_DEP_2) | instskip(SKIP_1) | instid1(VALU_DEP_3)
	v_add_co_u32 v31, s2, s36, v0
	s_wait_alu 0xf1ff
	v_add_co_ci_u32_e64 v32, null, s37, v1, s2
	s_delay_alu instid0(VALU_DEP_3)
	v_add_co_u32 v15, s2, v29, v2
	s_wait_alu 0xf1ff
	v_add_co_ci_u32_e64 v16, null, v30, v3, s2
	s_branch .LBB62_10
.LBB62_9:                               ;   in Loop: Header=BB62_10 Depth=3
	s_wait_alu 0xfffe
	s_or_b32 exec_lo, exec_lo, s2
	s_add_co_i32 s43, s43, 32
	s_wait_storecnt 0x0
	s_wait_loadcnt_dscnt 0x0
	s_wait_alu 0xfffe
	s_cmp_ge_i32 s43, s21
	s_barrier_signal -1
	s_barrier_wait -1
	global_inv scope:SCOPE_SE
	s_cbranch_scc1 .LBB62_6
.LBB62_10:                              ;   Parent Loop BB62_4 Depth=1
                                        ;     Parent Loop BB62_7 Depth=2
                                        ; =>    This Loop Header: Depth=3
                                        ;         Child Loop BB62_24 Depth 4
	s_wait_alu 0xfffe
	v_add_nc_u32_e32 v2, s43, v20
	v_mov_b32_e32 v6, 0
	s_mov_b32 s44, exec_lo
	v_mov_b32_e32 v7, 0
	s_delay_alu instid0(VALU_DEP_3) | instskip(SKIP_1) | instid1(VALU_DEP_1)
	v_cndmask_b32_e64 v0, v2, v8, s0
	v_cndmask_b32_e64 v1, v8, v2, s0
	v_cmp_gt_i32_e64 s2, v0, v1
	s_wait_alu 0xf1ff
	s_delay_alu instid0(VALU_DEP_1) | instskip(SKIP_4) | instid1(VALU_DEP_4)
	v_cndmask_b32_e64 v3, v8, v2, s2
	v_cndmask_b32_e64 v4, v2, v8, s2
	v_cmp_le_i32_e64 s2, v0, v1
	v_mov_b32_e32 v0, 0
	v_mov_b32_e32 v1, 0
	v_max_i32_e32 v3, v3, v4
	v_mov_b32_e32 v4, 0
	v_mov_b32_e32 v5, 0
	s_delay_alu instid0(VALU_DEP_3)
	v_cmpx_gt_i32_e64 s21, v3
	s_cbranch_execz .LBB62_20
; %bb.11:                               ;   in Loop: Header=BB62_10 Depth=3
                                        ; implicit-def: $vgpr6_vgpr7
	s_and_saveexec_b32 s3, s2
	s_wait_alu 0xfffe
	s_xor_b32 s3, exec_lo, s3
	s_cbranch_execz .LBB62_17
; %bb.12:                               ;   in Loop: Header=BB62_10 Depth=3
	s_mov_b32 s45, exec_lo
                                        ; implicit-def: $vgpr6_vgpr7
	v_cmpx_ne_u32_e64 v8, v2
	s_xor_b32 s45, exec_lo, s45
	s_cbranch_execz .LBB62_14
; %bb.13:                               ;   in Loop: Header=BB62_10 Depth=3
	v_ashrrev_i32_e32 v4, 31, v2
	v_mul_lo_u32 v5, s27, v2
	v_mad_co_u64_u32 v[2:3], null, s26, v2, 0
	s_delay_alu instid0(VALU_DEP_3) | instskip(NEXT) | instid1(VALU_DEP_1)
	v_mul_lo_u32 v4, s26, v4
	v_add3_u32 v3, v3, v4, v5
	s_delay_alu instid0(VALU_DEP_1) | instskip(NEXT) | instid1(VALU_DEP_1)
	v_lshlrev_b64_e32 v[2:3], 4, v[2:3]
	v_add_co_u32 v2, s2, v25, v2
	s_wait_alu 0xf1ff
	s_delay_alu instid0(VALU_DEP_2)
	v_add_co_ci_u32_e64 v3, null, v26, v3, s2
	flat_load_b128 v[4:7], v[2:3]
.LBB62_14:                              ;   in Loop: Header=BB62_10 Depth=3
	s_and_not1_saveexec_b32 s2, s45
	s_cbranch_execz .LBB62_16
; %bb.15:                               ;   in Loop: Header=BB62_10 Depth=3
	s_wait_loadcnt_dscnt 0x0
	flat_load_b64 v[4:5], v[13:14]
	v_mov_b32_e32 v6, 0
	v_mov_b32_e32 v7, 0
.LBB62_16:                              ;   in Loop: Header=BB62_10 Depth=3
	s_wait_alu 0xfffe
	s_or_b32 exec_lo, exec_lo, s2
                                        ; implicit-def: $vgpr2
.LBB62_17:                              ;   in Loop: Header=BB62_10 Depth=3
	s_wait_alu 0xfffe
	s_and_not1_saveexec_b32 s3, s3
	s_cbranch_execz .LBB62_19
; %bb.18:                               ;   in Loop: Header=BB62_10 Depth=3
	v_ashrrev_i32_e32 v3, 31, v2
	s_delay_alu instid0(VALU_DEP_1) | instskip(NEXT) | instid1(VALU_DEP_1)
	v_lshlrev_b64_e32 v[2:3], 4, v[2:3]
	v_add_co_u32 v2, s2, v27, v2
	s_wait_alu 0xf1ff
	s_delay_alu instid0(VALU_DEP_2)
	v_add_co_ci_u32_e64 v3, null, v28, v3, s2
	s_wait_loadcnt_dscnt 0x0
	flat_load_b128 v[4:7], v[2:3]
	s_wait_loadcnt_dscnt 0x0
	v_xor_b32_e32 v7, 0x80000000, v7
.LBB62_19:                              ;   in Loop: Header=BB62_10 Depth=3
	s_wait_alu 0xfffe
	s_or_b32 exec_lo, exec_lo, s3
.LBB62_20:                              ;   in Loop: Header=BB62_10 Depth=3
	s_delay_alu instid0(SALU_CYCLE_1)
	s_or_b32 exec_lo, exec_lo, s44
	v_dual_mov_b32 v2, 0 :: v_dual_add_nc_u32 v17, s43, v19
	v_mov_b32_e32 v3, 0
	s_wait_loadcnt_dscnt 0x0
	ds_store_b128 v22, v[4:7]
	v_cmp_gt_i32_e64 s2, s21, v17
	s_and_b32 s2, s2, vcc_lo
	s_wait_alu 0xfffe
	s_and_saveexec_b32 s3, s2
	s_cbranch_execz .LBB62_22
; %bb.21:                               ;   in Loop: Header=BB62_10 Depth=3
	v_ashrrev_i32_e32 v18, 31, v17
	s_delay_alu instid0(VALU_DEP_1) | instskip(NEXT) | instid1(VALU_DEP_1)
	v_lshlrev_b64_e32 v[0:1], 4, v[17:18]
	v_add_co_u32 v0, s2, v31, v0
	s_wait_alu 0xf1ff
	s_delay_alu instid0(VALU_DEP_2)
	v_add_co_ci_u32_e64 v1, null, v32, v1, s2
	flat_load_b128 v[0:3], v[0:1]
.LBB62_22:                              ;   in Loop: Header=BB62_10 Depth=3
	s_wait_alu 0xfffe
	s_or_b32 exec_lo, exec_lo, s3
	s_wait_loadcnt_dscnt 0x0
	ds_store_b128 v24, v[0:3]
	s_wait_dscnt 0x0
	s_barrier_signal -1
	s_barrier_wait -1
	global_inv scope:SCOPE_SE
	s_and_saveexec_b32 s2, s42
	s_cbranch_execz .LBB62_9
; %bb.23:                               ;   in Loop: Header=BB62_10 Depth=3
	v_mov_b32_e32 v0, 0
	v_dual_mov_b32 v1, 0 :: v_dual_mov_b32 v2, 0
	v_dual_mov_b32 v3, 0 :: v_dual_mov_b32 v4, v23
	s_mov_b32 s3, 0
.LBB62_24:                              ;   Parent Loop BB62_4 Depth=1
                                        ;     Parent Loop BB62_7 Depth=2
                                        ;       Parent Loop BB62_10 Depth=3
                                        ; =>      This Inner Loop Header: Depth=4
	s_wait_alu 0xfffe
	v_add_nc_u32_e32 v7, s3, v21
	s_addk_co_i32 s3, 0x80
	ds_load_b128 v[33:36], v4
	ds_load_b128 v[37:40], v7
	ds_load_b128 v[41:44], v4 offset:512
	ds_load_b128 v[45:48], v7 offset:16
	s_wait_alu 0xfffe
	s_cmp_eq_u32 s3, 0x200
	s_wait_dscnt 0x2
	v_mul_f64_e32 v[5:6], v[35:36], v[39:40]
	v_mul_f64_e32 v[17:18], v[33:34], v[39:40]
	s_wait_dscnt 0x0
	v_mul_f64_e32 v[55:56], v[43:44], v[47:48]
	v_mul_f64_e32 v[57:58], v[41:42], v[47:48]
	s_delay_alu instid0(VALU_DEP_4) | instskip(NEXT) | instid1(VALU_DEP_4)
	v_fma_f64 v[5:6], v[33:34], v[37:38], -v[5:6]
	v_fma_f64 v[17:18], v[35:36], v[37:38], v[17:18]
	ds_load_b128 v[33:36], v4 offset:1024
	ds_load_b128 v[37:40], v7 offset:32
	;; [unrolled: 1-line block ×4, first 2 shown]
	v_fma_f64 v[41:42], v[41:42], v[45:46], -v[55:56]
	v_fma_f64 v[43:44], v[43:44], v[45:46], v[57:58]
	s_wait_dscnt 0x2
	v_mul_f64_e32 v[59:60], v[35:36], v[39:40]
	v_mul_f64_e32 v[39:40], v[33:34], v[39:40]
	v_add_f64_e32 v[0:1], v[0:1], v[5:6]
	v_add_f64_e32 v[2:3], v[2:3], v[17:18]
	s_wait_dscnt 0x0
	v_mul_f64_e32 v[5:6], v[49:50], v[53:54]
	v_mul_f64_e32 v[17:18], v[47:48], v[53:54]
	v_fma_f64 v[45:46], v[33:34], v[37:38], -v[59:60]
	v_fma_f64 v[53:54], v[35:36], v[37:38], v[39:40]
	v_add_f64_e32 v[55:56], v[0:1], v[41:42]
	v_add_f64_e32 v[57:58], v[2:3], v[43:44]
	ds_load_b128 v[0:3], v4 offset:2048
	ds_load_b128 v[33:36], v7 offset:64
	;; [unrolled: 1-line block ×4, first 2 shown]
	v_fma_f64 v[5:6], v[47:48], v[51:52], -v[5:6]
	v_fma_f64 v[17:18], v[49:50], v[51:52], v[17:18]
	s_wait_dscnt 0x2
	v_mul_f64_e32 v[59:60], v[2:3], v[35:36]
	v_mul_f64_e32 v[35:36], v[0:1], v[35:36]
	s_wait_dscnt 0x0
	v_mul_f64_e32 v[51:52], v[39:40], v[43:44]
	v_add_f64_e32 v[45:46], v[55:56], v[45:46]
	v_add_f64_e32 v[47:48], v[57:58], v[53:54]
	v_mul_f64_e32 v[53:54], v[37:38], v[43:44]
	v_fma_f64 v[55:56], v[0:1], v[33:34], -v[59:60]
	v_fma_f64 v[57:58], v[2:3], v[33:34], v[35:36]
	v_fma_f64 v[37:38], v[37:38], v[41:42], -v[51:52]
	v_add_f64_e32 v[5:6], v[45:46], v[5:6]
	v_add_f64_e32 v[17:18], v[47:48], v[17:18]
	ds_load_b128 v[0:3], v4 offset:3072
	ds_load_b128 v[33:36], v7 offset:96
	;; [unrolled: 1-line block ×4, first 2 shown]
	v_fma_f64 v[39:40], v[39:40], v[41:42], v[53:54]
	v_add_nc_u32_e32 v4, 0x1000, v4
	s_wait_dscnt 0x2
	v_mul_f64_e32 v[59:60], v[2:3], v[35:36]
	v_mul_f64_e32 v[35:36], v[0:1], v[35:36]
	s_wait_dscnt 0x0
	v_mul_f64_e32 v[41:42], v[45:46], v[49:50]
	v_mul_f64_e32 v[49:50], v[43:44], v[49:50]
	v_add_f64_e32 v[5:6], v[5:6], v[55:56]
	v_add_f64_e32 v[17:18], v[17:18], v[57:58]
	v_fma_f64 v[0:1], v[0:1], v[33:34], -v[59:60]
	v_fma_f64 v[2:3], v[2:3], v[33:34], v[35:36]
	v_fma_f64 v[33:34], v[43:44], v[47:48], -v[41:42]
	v_fma_f64 v[35:36], v[45:46], v[47:48], v[49:50]
	v_add_f64_e32 v[5:6], v[5:6], v[37:38]
	v_add_f64_e32 v[17:18], v[17:18], v[39:40]
	s_delay_alu instid0(VALU_DEP_2) | instskip(NEXT) | instid1(VALU_DEP_2)
	v_add_f64_e32 v[0:1], v[5:6], v[0:1]
	v_add_f64_e32 v[2:3], v[17:18], v[2:3]
	s_delay_alu instid0(VALU_DEP_2) | instskip(NEXT) | instid1(VALU_DEP_2)
	v_add_f64_e32 v[0:1], v[0:1], v[33:34]
	v_add_f64_e32 v[2:3], v[2:3], v[35:36]
	s_cbranch_scc0 .LBB62_24
; %bb.25:                               ;   in Loop: Header=BB62_10 Depth=3
	flat_load_b128 v[4:7], v[15:16]
	v_mul_f64_e32 v[17:18], s[6:7], v[2:3]
	v_mul_f64_e32 v[33:34], s[6:7], v[0:1]
	s_delay_alu instid0(VALU_DEP_2) | instskip(NEXT) | instid1(VALU_DEP_2)
	v_fma_f64 v[0:1], s[4:5], v[0:1], -v[17:18]
	v_fma_f64 v[2:3], s[4:5], v[2:3], v[33:34]
	s_wait_loadcnt_dscnt 0x0
	s_delay_alu instid0(VALU_DEP_2) | instskip(NEXT) | instid1(VALU_DEP_2)
	v_add_f64_e32 v[0:1], v[0:1], v[4:5]
	v_add_f64_e32 v[2:3], v[2:3], v[6:7]
	flat_store_b128 v[15:16], v[0:3]
	s_branch .LBB62_9
.LBB62_26:
	s_endpgm
	.section	.rodata,"a",@progbits
	.p2align	6, 0x0
	.amdhsa_kernel _ZL24rocblas_symm_hemm_kernelILb1ELb0ELi32E19rocblas_complex_numIdEPKPKS1_PKPS1_EvbiiT2_T3_lllSA_lllT4_llli
		.amdhsa_group_segment_fixed_size 32768
		.amdhsa_private_segment_fixed_size 0
		.amdhsa_kernarg_size 392
		.amdhsa_user_sgpr_count 2
		.amdhsa_user_sgpr_dispatch_ptr 0
		.amdhsa_user_sgpr_queue_ptr 0
		.amdhsa_user_sgpr_kernarg_segment_ptr 1
		.amdhsa_user_sgpr_dispatch_id 0
		.amdhsa_user_sgpr_private_segment_size 0
		.amdhsa_wavefront_size32 1
		.amdhsa_uses_dynamic_stack 0
		.amdhsa_enable_private_segment 0
		.amdhsa_system_sgpr_workgroup_id_x 1
		.amdhsa_system_sgpr_workgroup_id_y 1
		.amdhsa_system_sgpr_workgroup_id_z 1
		.amdhsa_system_sgpr_workgroup_info 0
		.amdhsa_system_vgpr_workitem_id 1
		.amdhsa_next_free_vgpr 61
		.amdhsa_next_free_sgpr 46
		.amdhsa_reserve_vcc 1
		.amdhsa_float_round_mode_32 0
		.amdhsa_float_round_mode_16_64 0
		.amdhsa_float_denorm_mode_32 3
		.amdhsa_float_denorm_mode_16_64 3
		.amdhsa_fp16_overflow 0
		.amdhsa_workgroup_processor_mode 1
		.amdhsa_memory_ordered 1
		.amdhsa_forward_progress 1
		.amdhsa_inst_pref_size 15
		.amdhsa_round_robin_scheduling 0
		.amdhsa_exception_fp_ieee_invalid_op 0
		.amdhsa_exception_fp_denorm_src 0
		.amdhsa_exception_fp_ieee_div_zero 0
		.amdhsa_exception_fp_ieee_overflow 0
		.amdhsa_exception_fp_ieee_underflow 0
		.amdhsa_exception_fp_ieee_inexact 0
		.amdhsa_exception_int_div_zero 0
	.end_amdhsa_kernel
	.section	.text._ZL24rocblas_symm_hemm_kernelILb1ELb0ELi32E19rocblas_complex_numIdEPKPKS1_PKPS1_EvbiiT2_T3_lllSA_lllT4_llli,"axG",@progbits,_ZL24rocblas_symm_hemm_kernelILb1ELb0ELi32E19rocblas_complex_numIdEPKPKS1_PKPS1_EvbiiT2_T3_lllSA_lllT4_llli,comdat
.Lfunc_end62:
	.size	_ZL24rocblas_symm_hemm_kernelILb1ELb0ELi32E19rocblas_complex_numIdEPKPKS1_PKPS1_EvbiiT2_T3_lllSA_lllT4_llli, .Lfunc_end62-_ZL24rocblas_symm_hemm_kernelILb1ELb0ELi32E19rocblas_complex_numIdEPKPKS1_PKPS1_EvbiiT2_T3_lllSA_lllT4_llli
                                        ; -- End function
	.set _ZL24rocblas_symm_hemm_kernelILb1ELb0ELi32E19rocblas_complex_numIdEPKPKS1_PKPS1_EvbiiT2_T3_lllSA_lllT4_llli.num_vgpr, 61
	.set _ZL24rocblas_symm_hemm_kernelILb1ELb0ELi32E19rocblas_complex_numIdEPKPKS1_PKPS1_EvbiiT2_T3_lllSA_lllT4_llli.num_agpr, 0
	.set _ZL24rocblas_symm_hemm_kernelILb1ELb0ELi32E19rocblas_complex_numIdEPKPKS1_PKPS1_EvbiiT2_T3_lllSA_lllT4_llli.numbered_sgpr, 46
	.set _ZL24rocblas_symm_hemm_kernelILb1ELb0ELi32E19rocblas_complex_numIdEPKPKS1_PKPS1_EvbiiT2_T3_lllSA_lllT4_llli.num_named_barrier, 0
	.set _ZL24rocblas_symm_hemm_kernelILb1ELb0ELi32E19rocblas_complex_numIdEPKPKS1_PKPS1_EvbiiT2_T3_lllSA_lllT4_llli.private_seg_size, 0
	.set _ZL24rocblas_symm_hemm_kernelILb1ELb0ELi32E19rocblas_complex_numIdEPKPKS1_PKPS1_EvbiiT2_T3_lllSA_lllT4_llli.uses_vcc, 1
	.set _ZL24rocblas_symm_hemm_kernelILb1ELb0ELi32E19rocblas_complex_numIdEPKPKS1_PKPS1_EvbiiT2_T3_lllSA_lllT4_llli.uses_flat_scratch, 0
	.set _ZL24rocblas_symm_hemm_kernelILb1ELb0ELi32E19rocblas_complex_numIdEPKPKS1_PKPS1_EvbiiT2_T3_lllSA_lllT4_llli.has_dyn_sized_stack, 0
	.set _ZL24rocblas_symm_hemm_kernelILb1ELb0ELi32E19rocblas_complex_numIdEPKPKS1_PKPS1_EvbiiT2_T3_lllSA_lllT4_llli.has_recursion, 0
	.set _ZL24rocblas_symm_hemm_kernelILb1ELb0ELi32E19rocblas_complex_numIdEPKPKS1_PKPS1_EvbiiT2_T3_lllSA_lllT4_llli.has_indirect_call, 0
	.section	.AMDGPU.csdata,"",@progbits
; Kernel info:
; codeLenInByte = 1840
; TotalNumSgprs: 48
; NumVgprs: 61
; ScratchSize: 0
; MemoryBound: 1
; FloatMode: 240
; IeeeMode: 1
; LDSByteSize: 32768 bytes/workgroup (compile time only)
; SGPRBlocks: 0
; VGPRBlocks: 7
; NumSGPRsForWavesPerEU: 48
; NumVGPRsForWavesPerEU: 61
; Occupancy: 16
; WaveLimiterHint : 1
; COMPUTE_PGM_RSRC2:SCRATCH_EN: 0
; COMPUTE_PGM_RSRC2:USER_SGPR: 2
; COMPUTE_PGM_RSRC2:TRAP_HANDLER: 0
; COMPUTE_PGM_RSRC2:TGID_X_EN: 1
; COMPUTE_PGM_RSRC2:TGID_Y_EN: 1
; COMPUTE_PGM_RSRC2:TGID_Z_EN: 1
; COMPUTE_PGM_RSRC2:TIDIG_COMP_CNT: 1
	.section	.text._ZL24rocblas_symm_hemm_kernelILb1ELb1ELi32E19rocblas_complex_numIdEPKPKS1_PKPS1_EvbiiT2_T3_lllSA_lllT4_llli,"axG",@progbits,_ZL24rocblas_symm_hemm_kernelILb1ELb1ELi32E19rocblas_complex_numIdEPKPKS1_PKPS1_EvbiiT2_T3_lllSA_lllT4_llli,comdat
	.globl	_ZL24rocblas_symm_hemm_kernelILb1ELb1ELi32E19rocblas_complex_numIdEPKPKS1_PKPS1_EvbiiT2_T3_lllSA_lllT4_llli ; -- Begin function _ZL24rocblas_symm_hemm_kernelILb1ELb1ELi32E19rocblas_complex_numIdEPKPKS1_PKPS1_EvbiiT2_T3_lllSA_lllT4_llli
	.p2align	8
	.type	_ZL24rocblas_symm_hemm_kernelILb1ELb1ELi32E19rocblas_complex_numIdEPKPKS1_PKPS1_EvbiiT2_T3_lllSA_lllT4_llli,@function
_ZL24rocblas_symm_hemm_kernelILb1ELb1ELi32E19rocblas_complex_numIdEPKPKS1_PKPS1_EvbiiT2_T3_lllSA_lllT4_llli: ; @_ZL24rocblas_symm_hemm_kernelILb1ELb1ELi32E19rocblas_complex_numIdEPKPKS1_PKPS1_EvbiiT2_T3_lllSA_lllT4_llli
; %bb.0:
	s_load_b256 s[4:11], s[0:1], 0x10
	s_wait_kmcnt 0x0
	v_cmp_eq_f64_e64 s2, s[4:5], 0
	v_cmp_eq_f64_e64 s3, s[6:7], 0
	s_and_b32 s2, s2, s3
	s_delay_alu instid0(SALU_CYCLE_1)
	s_and_b32 vcc_lo, exec_lo, s2
	s_cbranch_vccnz .LBB63_26
; %bb.1:
	s_load_b32 s3, s[0:1], 0x80
	s_lshr_b32 s24, ttmp7, 16
	s_wait_kmcnt 0x0
	s_cmp_ge_u32 s24, s3
	s_cbranch_scc1 .LBB63_26
; %bb.2:
	s_clause 0x5
	s_load_b96 s[20:22], s[0:1], 0x0
	s_load_b64 s[26:27], s[0:1], 0x30
	s_load_b64 s[28:29], s[0:1], 0x50
	s_load_b128 s[12:15], s[0:1], 0x40
	s_load_b64 s[30:31], s[0:1], 0x70
	s_load_b128 s[16:19], s[0:1], 0x60
	v_and_b32_e32 v18, 0x3ff, v0
	v_bfe_u32 v17, v0, 10, 10
	s_add_nc_u64 s[34:35], s[0:1], 0x88
	s_mov_b32 s25, 0
	s_delay_alu instid0(VALU_DEP_2) | instskip(NEXT) | instid1(VALU_DEP_2)
	v_lshl_add_u32 v0, ttmp9, 5, v18
	v_lshlrev_b32_e32 v2, 4, v17
	v_lshlrev_b32_e32 v19, 9, v18
	s_delay_alu instid0(VALU_DEP_3) | instskip(NEXT) | instid1(VALU_DEP_3)
	v_ashrrev_i32_e32 v1, 31, v0
	v_or_b32_e32 v20, 0x4000, v2
	s_delay_alu instid0(VALU_DEP_3) | instskip(NEXT) | instid1(VALU_DEP_3)
	v_add_nc_u32_e32 v21, v19, v2
	v_lshlrev_b64_e32 v[8:9], 4, v[0:1]
	s_wait_kmcnt 0x0
	s_bitcmp1_b32 s20, 0
	v_add_nc_u32_e32 v22, v20, v19
	s_cselect_b32 s0, -1, 0
	s_add_co_i32 s1, s22, -1
	s_wait_alu 0xfffe
	s_and_b32 s23, ttmp7, 0xffff
	s_ashr_i32 s2, s1, 31
	s_delay_alu instid0(SALU_CYCLE_1) | instskip(NEXT) | instid1(SALU_CYCLE_1)
	s_lshr_b32 s2, s2, 27
	s_add_co_i32 s1, s1, s2
	s_wait_alu 0xfffe
	s_ashr_i32 s33, s1, 5
	v_cmp_gt_i32_e64 s1, s21, v0
	s_cmp_le_i32 s23, s33
	s_cselect_b32 s36, -1, 0
	s_cmp_gt_i32 s22, 0
	s_cselect_b32 s37, -1, 0
	s_lshl_b64 s[10:11], s[10:11], 4
	s_lshl_b64 s[18:19], s[18:19], 4
	;; [unrolled: 1-line block ×3, first 2 shown]
	s_branch .LBB63_4
.LBB63_3:                               ;   in Loop: Header=BB63_4 Depth=1
	s_add_co_i32 s24, s24, 0x10000
	s_delay_alu instid0(SALU_CYCLE_1)
	s_cmp_lt_u32 s24, s3
	s_cbranch_scc0 .LBB63_26
.LBB63_4:                               ; =>This Loop Header: Depth=1
                                        ;     Child Loop BB63_7 Depth 2
                                        ;       Child Loop BB63_10 Depth 3
                                        ;         Child Loop BB63_24 Depth 4
	s_and_not1_b32 vcc_lo, exec_lo, s36
	s_wait_alu 0xfffe
	s_cbranch_vccnz .LBB63_3
; %bb.5:                                ;   in Loop: Header=BB63_4 Depth=1
	s_lshl_b64 s[20:21], s[24:25], 3
	s_wait_alu 0xfffe
	s_add_nc_u64 s[38:39], s[16:17], s[20:21]
	s_add_nc_u64 s[40:41], s[12:13], s[20:21]
	s_load_b64 s[42:43], s[38:39], 0x0
	s_load_b64 s[40:41], s[40:41], 0x0
	s_add_nc_u64 s[20:21], s[8:9], s[20:21]
	s_load_b64 s[20:21], s[20:21], 0x0
	s_load_b32 s38, s[34:35], 0x4
	s_mov_b32 s39, s23
	s_wait_kmcnt 0x0
	s_add_nc_u64 s[42:43], s[42:43], s[18:19]
	s_add_nc_u64 s[40:41], s[40:41], s[14:15]
	;; [unrolled: 1-line block ×3, first 2 shown]
	s_wait_alu 0xfffe
	v_add_co_u32 v23, vcc_lo, s40, v8
	s_wait_alu 0xfffd
	v_add_co_ci_u32_e64 v24, null, s41, v9, vcc_lo
	v_add_co_u32 v25, vcc_lo, s42, v8
	s_wait_alu 0xfffd
	v_add_co_ci_u32_e64 v26, null, s43, v9, vcc_lo
	s_branch .LBB63_7
.LBB63_6:                               ;   in Loop: Header=BB63_7 Depth=2
	s_add_co_i32 s39, s39, s38
	s_wait_alu 0xfffe
	s_cmp_gt_i32 s39, s33
	s_cbranch_scc1 .LBB63_3
.LBB63_7:                               ;   Parent Loop BB63_4 Depth=1
                                        ; =>  This Loop Header: Depth=2
                                        ;       Child Loop BB63_10 Depth 3
                                        ;         Child Loop BB63_24 Depth 4
	s_and_not1_b32 vcc_lo, exec_lo, s37
	s_wait_alu 0xfffe
	s_cbranch_vccnz .LBB63_6
; %bb.8:                                ;   in Loop: Header=BB63_7 Depth=2
	v_lshl_add_u32 v10, s39, 5, v17
	s_mov_b32 s41, 0
	s_delay_alu instid0(VALU_DEP_1) | instskip(SKIP_3) | instid1(VALU_DEP_4)
	v_ashrrev_i32_e32 v11, 31, v10
	v_mul_lo_u32 v4, s27, v10
	v_mad_co_u64_u32 v[0:1], null, s26, v10, 0
	v_mul_lo_u32 v6, s31, v10
	v_mul_lo_u32 v5, s26, v11
	v_mad_co_u64_u32 v[2:3], null, s30, v10, 0
	v_mul_lo_u32 v7, s30, v11
	v_cmp_gt_i32_e32 vcc_lo, s22, v10
	s_delay_alu instid0(VALU_DEP_4) | instskip(SKIP_2) | instid1(VALU_DEP_4)
	v_add3_u32 v1, v1, v5, v4
	v_lshlrev_b64_e32 v[4:5], 4, v[10:11]
	s_and_b32 s40, s1, vcc_lo
	v_add3_u32 v3, v3, v7, v6
	s_delay_alu instid0(VALU_DEP_3) | instskip(NEXT) | instid1(VALU_DEP_3)
	v_lshlrev_b64_e32 v[0:1], 4, v[0:1]
	v_add_co_u32 v27, s2, s20, v4
	s_delay_alu instid0(VALU_DEP_3) | instskip(SKIP_2) | instid1(VALU_DEP_4)
	v_lshlrev_b64_e32 v[2:3], 4, v[2:3]
	s_wait_alu 0xf1ff
	v_add_co_ci_u32_e64 v28, null, s21, v5, s2
	v_add_co_u32 v29, s2, s20, v0
	s_wait_alu 0xf1ff
	v_add_co_ci_u32_e64 v30, null, s21, v1, s2
	v_add_co_u32 v11, s2, v25, v2
	;; [unrolled: 3-line block ×3, first 2 shown]
	s_wait_alu 0xf1ff
	v_add_co_ci_u32_e64 v14, null, v30, v5, s2
	s_branch .LBB63_10
.LBB63_9:                               ;   in Loop: Header=BB63_10 Depth=3
	s_wait_alu 0xfffe
	s_or_b32 exec_lo, exec_lo, s2
	s_add_co_i32 s41, s41, 32
	s_wait_storecnt 0x0
	s_wait_loadcnt_dscnt 0x0
	s_wait_alu 0xfffe
	s_cmp_ge_i32 s41, s22
	s_barrier_signal -1
	s_barrier_wait -1
	global_inv scope:SCOPE_SE
	s_cbranch_scc1 .LBB63_6
.LBB63_10:                              ;   Parent Loop BB63_4 Depth=1
                                        ;     Parent Loop BB63_7 Depth=2
                                        ; =>    This Loop Header: Depth=3
                                        ;         Child Loop BB63_24 Depth 4
	s_wait_alu 0xfffe
	v_add_nc_u32_e32 v2, s41, v17
	v_mov_b32_e32 v0, 0
	v_dual_mov_b32 v1, 0 :: v_dual_mov_b32 v4, 0
	v_mov_b32_e32 v6, 0
	s_delay_alu instid0(VALU_DEP_4)
	v_cmp_gt_i32_e32 vcc_lo, s22, v2
	v_mov_b32_e32 v5, 0
	v_mov_b32_e32 v7, 0
	s_and_b32 s42, s1, vcc_lo
	s_wait_alu 0xfffe
	s_and_saveexec_b32 s2, s42
	s_cbranch_execz .LBB63_12
; %bb.11:                               ;   in Loop: Header=BB63_10 Depth=3
	v_ashrrev_i32_e32 v4, 31, v2
	v_mul_lo_u32 v5, s29, v2
	v_mad_co_u64_u32 v[2:3], null, s28, v2, 0
	s_delay_alu instid0(VALU_DEP_3) | instskip(NEXT) | instid1(VALU_DEP_1)
	v_mul_lo_u32 v4, s28, v4
	v_add3_u32 v3, v3, v4, v5
	s_delay_alu instid0(VALU_DEP_1) | instskip(NEXT) | instid1(VALU_DEP_1)
	v_lshlrev_b64_e32 v[2:3], 4, v[2:3]
	v_add_co_u32 v2, vcc_lo, v23, v2
	s_wait_alu 0xfffd
	s_delay_alu instid0(VALU_DEP_2)
	v_add_co_ci_u32_e64 v3, null, v24, v3, vcc_lo
	flat_load_b128 v[4:7], v[2:3]
.LBB63_12:                              ;   in Loop: Header=BB63_10 Depth=3
	s_wait_alu 0xfffe
	s_or_b32 exec_lo, exec_lo, s2
	v_add_nc_u32_e32 v15, s41, v18
	s_mov_b32 s42, exec_lo
	s_wait_loadcnt_dscnt 0x0
	ds_store_b128 v21, v[4:7]
	v_cndmask_b32_e64 v2, v10, v15, s0
	v_cndmask_b32_e64 v3, v15, v10, s0
	s_delay_alu instid0(VALU_DEP_1)
	v_cmp_gt_i32_e32 vcc_lo, v2, v3
	s_wait_alu 0xfffd
	v_dual_cndmask_b32 v16, v15, v10 :: v_dual_cndmask_b32 v31, v10, v15
	v_cmp_le_i32_e32 vcc_lo, v2, v3
	v_mov_b32_e32 v2, 0
	v_mov_b32_e32 v3, 0
	s_delay_alu instid0(VALU_DEP_4) | instskip(NEXT) | instid1(VALU_DEP_1)
	v_max_i32_e32 v16, v16, v31
	v_cmpx_gt_i32_e64 s22, v16
	s_cbranch_execz .LBB63_22
; %bb.13:                               ;   in Loop: Header=BB63_10 Depth=3
                                        ; implicit-def: $vgpr2_vgpr3
	s_and_saveexec_b32 s2, vcc_lo
	s_wait_alu 0xfffe
	s_xor_b32 s2, exec_lo, s2
	s_cbranch_execz .LBB63_19
; %bb.14:                               ;   in Loop: Header=BB63_10 Depth=3
	s_mov_b32 s43, exec_lo
                                        ; implicit-def: $vgpr2_vgpr3
	v_cmpx_ne_u32_e64 v15, v10
	s_wait_alu 0xfffe
	s_xor_b32 s43, exec_lo, s43
	s_cbranch_execz .LBB63_16
; %bb.15:                               ;   in Loop: Header=BB63_10 Depth=3
	v_ashrrev_i32_e32 v16, 31, v15
	s_delay_alu instid0(VALU_DEP_1) | instskip(NEXT) | instid1(VALU_DEP_1)
	v_lshlrev_b64_e32 v[0:1], 4, v[15:16]
	v_add_co_u32 v0, vcc_lo, v29, v0
	s_wait_alu 0xfffd
	s_delay_alu instid0(VALU_DEP_2)
	v_add_co_ci_u32_e64 v1, null, v30, v1, vcc_lo
	flat_load_b128 v[0:3], v[0:1]
.LBB63_16:                              ;   in Loop: Header=BB63_10 Depth=3
	s_wait_alu 0xfffe
	s_and_not1_saveexec_b32 s43, s43
	s_cbranch_execz .LBB63_18
; %bb.17:                               ;   in Loop: Header=BB63_10 Depth=3
	s_wait_loadcnt_dscnt 0x0
	flat_load_b64 v[0:1], v[13:14]
	v_mov_b32_e32 v2, 0
	v_mov_b32_e32 v3, 0
.LBB63_18:                              ;   in Loop: Header=BB63_10 Depth=3
	s_wait_alu 0xfffe
	s_or_b32 exec_lo, exec_lo, s43
                                        ; implicit-def: $vgpr15
.LBB63_19:                              ;   in Loop: Header=BB63_10 Depth=3
	s_wait_alu 0xfffe
	s_and_not1_saveexec_b32 s2, s2
	s_cbranch_execz .LBB63_21
; %bb.20:                               ;   in Loop: Header=BB63_10 Depth=3
	s_wait_loadcnt_dscnt 0x0
	v_ashrrev_i32_e32 v2, 31, v15
	v_mul_lo_u32 v3, s27, v15
	v_mad_co_u64_u32 v[0:1], null, s26, v15, 0
	s_delay_alu instid0(VALU_DEP_3) | instskip(NEXT) | instid1(VALU_DEP_1)
	v_mul_lo_u32 v2, s26, v2
	v_add3_u32 v1, v1, v2, v3
	s_delay_alu instid0(VALU_DEP_1) | instskip(NEXT) | instid1(VALU_DEP_1)
	v_lshlrev_b64_e32 v[0:1], 4, v[0:1]
	v_add_co_u32 v0, vcc_lo, v27, v0
	s_wait_alu 0xfffd
	s_delay_alu instid0(VALU_DEP_2)
	v_add_co_ci_u32_e64 v1, null, v28, v1, vcc_lo
	flat_load_b128 v[0:3], v[0:1]
	s_wait_loadcnt_dscnt 0x0
	v_xor_b32_e32 v3, 0x80000000, v3
.LBB63_21:                              ;   in Loop: Header=BB63_10 Depth=3
	s_wait_alu 0xfffe
	s_or_b32 exec_lo, exec_lo, s2
.LBB63_22:                              ;   in Loop: Header=BB63_10 Depth=3
	s_wait_alu 0xfffe
	s_or_b32 exec_lo, exec_lo, s42
	s_wait_loadcnt_dscnt 0x0
	ds_store_b128 v22, v[0:3]
	s_wait_dscnt 0x0
	s_barrier_signal -1
	s_barrier_wait -1
	global_inv scope:SCOPE_SE
	s_and_saveexec_b32 s2, s40
	s_cbranch_execz .LBB63_9
; %bb.23:                               ;   in Loop: Header=BB63_10 Depth=3
	v_mov_b32_e32 v0, 0
	v_dual_mov_b32 v1, 0 :: v_dual_mov_b32 v2, 0
	v_dual_mov_b32 v3, 0 :: v_dual_mov_b32 v4, v20
	s_mov_b32 s42, 0
.LBB63_24:                              ;   Parent Loop BB63_4 Depth=1
                                        ;     Parent Loop BB63_7 Depth=2
                                        ;       Parent Loop BB63_10 Depth=3
                                        ; =>      This Inner Loop Header: Depth=4
	s_wait_alu 0xfffe
	v_add_nc_u32_e32 v7, s42, v19
	s_addk_co_i32 s42, 0x80
	ds_load_b128 v[31:34], v4
	ds_load_b128 v[35:38], v7
	ds_load_b128 v[39:42], v4 offset:512
	ds_load_b128 v[43:46], v7 offset:16
	s_wait_alu 0xfffe
	s_cmp_eq_u32 s42, 0x200
	s_wait_dscnt 0x2
	v_mul_f64_e32 v[5:6], v[33:34], v[37:38]
	v_mul_f64_e32 v[15:16], v[31:32], v[37:38]
	s_wait_dscnt 0x0
	v_mul_f64_e32 v[53:54], v[41:42], v[45:46]
	v_mul_f64_e32 v[55:56], v[39:40], v[45:46]
	s_delay_alu instid0(VALU_DEP_4) | instskip(NEXT) | instid1(VALU_DEP_4)
	v_fma_f64 v[5:6], v[31:32], v[35:36], -v[5:6]
	v_fma_f64 v[15:16], v[33:34], v[35:36], v[15:16]
	ds_load_b128 v[31:34], v4 offset:1024
	ds_load_b128 v[35:38], v7 offset:32
	;; [unrolled: 1-line block ×4, first 2 shown]
	v_fma_f64 v[39:40], v[39:40], v[43:44], -v[53:54]
	v_fma_f64 v[41:42], v[41:42], v[43:44], v[55:56]
	s_wait_dscnt 0x2
	v_mul_f64_e32 v[57:58], v[33:34], v[37:38]
	v_mul_f64_e32 v[37:38], v[31:32], v[37:38]
	v_add_f64_e32 v[0:1], v[0:1], v[5:6]
	v_add_f64_e32 v[2:3], v[2:3], v[15:16]
	s_wait_dscnt 0x0
	v_mul_f64_e32 v[5:6], v[47:48], v[51:52]
	v_mul_f64_e32 v[15:16], v[45:46], v[51:52]
	v_fma_f64 v[43:44], v[31:32], v[35:36], -v[57:58]
	v_fma_f64 v[51:52], v[33:34], v[35:36], v[37:38]
	v_add_f64_e32 v[53:54], v[0:1], v[39:40]
	v_add_f64_e32 v[55:56], v[2:3], v[41:42]
	ds_load_b128 v[0:3], v4 offset:2048
	ds_load_b128 v[31:34], v7 offset:64
	;; [unrolled: 1-line block ×4, first 2 shown]
	v_fma_f64 v[5:6], v[45:46], v[49:50], -v[5:6]
	v_fma_f64 v[15:16], v[47:48], v[49:50], v[15:16]
	s_wait_dscnt 0x2
	v_mul_f64_e32 v[57:58], v[2:3], v[33:34]
	v_mul_f64_e32 v[33:34], v[0:1], v[33:34]
	s_wait_dscnt 0x0
	v_mul_f64_e32 v[49:50], v[37:38], v[41:42]
	v_add_f64_e32 v[43:44], v[53:54], v[43:44]
	v_add_f64_e32 v[45:46], v[55:56], v[51:52]
	v_mul_f64_e32 v[51:52], v[35:36], v[41:42]
	v_fma_f64 v[53:54], v[0:1], v[31:32], -v[57:58]
	v_fma_f64 v[55:56], v[2:3], v[31:32], v[33:34]
	v_fma_f64 v[35:36], v[35:36], v[39:40], -v[49:50]
	v_add_f64_e32 v[5:6], v[43:44], v[5:6]
	v_add_f64_e32 v[15:16], v[45:46], v[15:16]
	ds_load_b128 v[0:3], v4 offset:3072
	ds_load_b128 v[31:34], v7 offset:96
	;; [unrolled: 1-line block ×4, first 2 shown]
	v_fma_f64 v[37:38], v[37:38], v[39:40], v[51:52]
	v_add_nc_u32_e32 v4, 0x1000, v4
	s_wait_dscnt 0x2
	v_mul_f64_e32 v[57:58], v[2:3], v[33:34]
	v_mul_f64_e32 v[33:34], v[0:1], v[33:34]
	s_wait_dscnt 0x0
	v_mul_f64_e32 v[39:40], v[43:44], v[47:48]
	v_mul_f64_e32 v[47:48], v[41:42], v[47:48]
	v_add_f64_e32 v[5:6], v[5:6], v[53:54]
	v_add_f64_e32 v[15:16], v[15:16], v[55:56]
	v_fma_f64 v[0:1], v[0:1], v[31:32], -v[57:58]
	v_fma_f64 v[2:3], v[2:3], v[31:32], v[33:34]
	v_fma_f64 v[31:32], v[41:42], v[45:46], -v[39:40]
	v_fma_f64 v[33:34], v[43:44], v[45:46], v[47:48]
	v_add_f64_e32 v[5:6], v[5:6], v[35:36]
	v_add_f64_e32 v[15:16], v[15:16], v[37:38]
	s_delay_alu instid0(VALU_DEP_2) | instskip(NEXT) | instid1(VALU_DEP_2)
	v_add_f64_e32 v[0:1], v[5:6], v[0:1]
	v_add_f64_e32 v[2:3], v[15:16], v[2:3]
	s_delay_alu instid0(VALU_DEP_2) | instskip(NEXT) | instid1(VALU_DEP_2)
	v_add_f64_e32 v[0:1], v[0:1], v[31:32]
	v_add_f64_e32 v[2:3], v[2:3], v[33:34]
	s_cbranch_scc0 .LBB63_24
; %bb.25:                               ;   in Loop: Header=BB63_10 Depth=3
	flat_load_b128 v[4:7], v[11:12]
	v_mul_f64_e32 v[15:16], s[6:7], v[2:3]
	v_mul_f64_e32 v[31:32], s[6:7], v[0:1]
	s_delay_alu instid0(VALU_DEP_2) | instskip(NEXT) | instid1(VALU_DEP_2)
	v_fma_f64 v[0:1], s[4:5], v[0:1], -v[15:16]
	v_fma_f64 v[2:3], s[4:5], v[2:3], v[31:32]
	s_wait_loadcnt_dscnt 0x0
	s_delay_alu instid0(VALU_DEP_2) | instskip(NEXT) | instid1(VALU_DEP_2)
	v_add_f64_e32 v[0:1], v[0:1], v[4:5]
	v_add_f64_e32 v[2:3], v[2:3], v[6:7]
	flat_store_b128 v[11:12], v[0:3]
	s_branch .LBB63_9
.LBB63_26:
	s_endpgm
	.section	.rodata,"a",@progbits
	.p2align	6, 0x0
	.amdhsa_kernel _ZL24rocblas_symm_hemm_kernelILb1ELb1ELi32E19rocblas_complex_numIdEPKPKS1_PKPS1_EvbiiT2_T3_lllSA_lllT4_llli
		.amdhsa_group_segment_fixed_size 32768
		.amdhsa_private_segment_fixed_size 0
		.amdhsa_kernarg_size 392
		.amdhsa_user_sgpr_count 2
		.amdhsa_user_sgpr_dispatch_ptr 0
		.amdhsa_user_sgpr_queue_ptr 0
		.amdhsa_user_sgpr_kernarg_segment_ptr 1
		.amdhsa_user_sgpr_dispatch_id 0
		.amdhsa_user_sgpr_private_segment_size 0
		.amdhsa_wavefront_size32 1
		.amdhsa_uses_dynamic_stack 0
		.amdhsa_enable_private_segment 0
		.amdhsa_system_sgpr_workgroup_id_x 1
		.amdhsa_system_sgpr_workgroup_id_y 1
		.amdhsa_system_sgpr_workgroup_id_z 1
		.amdhsa_system_sgpr_workgroup_info 0
		.amdhsa_system_vgpr_workitem_id 1
		.amdhsa_next_free_vgpr 59
		.amdhsa_next_free_sgpr 44
		.amdhsa_reserve_vcc 1
		.amdhsa_float_round_mode_32 0
		.amdhsa_float_round_mode_16_64 0
		.amdhsa_float_denorm_mode_32 3
		.amdhsa_float_denorm_mode_16_64 3
		.amdhsa_fp16_overflow 0
		.amdhsa_workgroup_processor_mode 1
		.amdhsa_memory_ordered 1
		.amdhsa_forward_progress 1
		.amdhsa_inst_pref_size 15
		.amdhsa_round_robin_scheduling 0
		.amdhsa_exception_fp_ieee_invalid_op 0
		.amdhsa_exception_fp_denorm_src 0
		.amdhsa_exception_fp_ieee_div_zero 0
		.amdhsa_exception_fp_ieee_overflow 0
		.amdhsa_exception_fp_ieee_underflow 0
		.amdhsa_exception_fp_ieee_inexact 0
		.amdhsa_exception_int_div_zero 0
	.end_amdhsa_kernel
	.section	.text._ZL24rocblas_symm_hemm_kernelILb1ELb1ELi32E19rocblas_complex_numIdEPKPKS1_PKPS1_EvbiiT2_T3_lllSA_lllT4_llli,"axG",@progbits,_ZL24rocblas_symm_hemm_kernelILb1ELb1ELi32E19rocblas_complex_numIdEPKPKS1_PKPS1_EvbiiT2_T3_lllSA_lllT4_llli,comdat
.Lfunc_end63:
	.size	_ZL24rocblas_symm_hemm_kernelILb1ELb1ELi32E19rocblas_complex_numIdEPKPKS1_PKPS1_EvbiiT2_T3_lllSA_lllT4_llli, .Lfunc_end63-_ZL24rocblas_symm_hemm_kernelILb1ELb1ELi32E19rocblas_complex_numIdEPKPKS1_PKPS1_EvbiiT2_T3_lllSA_lllT4_llli
                                        ; -- End function
	.set _ZL24rocblas_symm_hemm_kernelILb1ELb1ELi32E19rocblas_complex_numIdEPKPKS1_PKPS1_EvbiiT2_T3_lllSA_lllT4_llli.num_vgpr, 59
	.set _ZL24rocblas_symm_hemm_kernelILb1ELb1ELi32E19rocblas_complex_numIdEPKPKS1_PKPS1_EvbiiT2_T3_lllSA_lllT4_llli.num_agpr, 0
	.set _ZL24rocblas_symm_hemm_kernelILb1ELb1ELi32E19rocblas_complex_numIdEPKPKS1_PKPS1_EvbiiT2_T3_lllSA_lllT4_llli.numbered_sgpr, 44
	.set _ZL24rocblas_symm_hemm_kernelILb1ELb1ELi32E19rocblas_complex_numIdEPKPKS1_PKPS1_EvbiiT2_T3_lllSA_lllT4_llli.num_named_barrier, 0
	.set _ZL24rocblas_symm_hemm_kernelILb1ELb1ELi32E19rocblas_complex_numIdEPKPKS1_PKPS1_EvbiiT2_T3_lllSA_lllT4_llli.private_seg_size, 0
	.set _ZL24rocblas_symm_hemm_kernelILb1ELb1ELi32E19rocblas_complex_numIdEPKPKS1_PKPS1_EvbiiT2_T3_lllSA_lllT4_llli.uses_vcc, 1
	.set _ZL24rocblas_symm_hemm_kernelILb1ELb1ELi32E19rocblas_complex_numIdEPKPKS1_PKPS1_EvbiiT2_T3_lllSA_lllT4_llli.uses_flat_scratch, 0
	.set _ZL24rocblas_symm_hemm_kernelILb1ELb1ELi32E19rocblas_complex_numIdEPKPKS1_PKPS1_EvbiiT2_T3_lllSA_lllT4_llli.has_dyn_sized_stack, 0
	.set _ZL24rocblas_symm_hemm_kernelILb1ELb1ELi32E19rocblas_complex_numIdEPKPKS1_PKPS1_EvbiiT2_T3_lllSA_lllT4_llli.has_recursion, 0
	.set _ZL24rocblas_symm_hemm_kernelILb1ELb1ELi32E19rocblas_complex_numIdEPKPKS1_PKPS1_EvbiiT2_T3_lllSA_lllT4_llli.has_indirect_call, 0
	.section	.AMDGPU.csdata,"",@progbits
; Kernel info:
; codeLenInByte = 1828
; TotalNumSgprs: 46
; NumVgprs: 59
; ScratchSize: 0
; MemoryBound: 1
; FloatMode: 240
; IeeeMode: 1
; LDSByteSize: 32768 bytes/workgroup (compile time only)
; SGPRBlocks: 0
; VGPRBlocks: 7
; NumSGPRsForWavesPerEU: 46
; NumVGPRsForWavesPerEU: 59
; Occupancy: 16
; WaveLimiterHint : 1
; COMPUTE_PGM_RSRC2:SCRATCH_EN: 0
; COMPUTE_PGM_RSRC2:USER_SGPR: 2
; COMPUTE_PGM_RSRC2:TRAP_HANDLER: 0
; COMPUTE_PGM_RSRC2:TGID_X_EN: 1
; COMPUTE_PGM_RSRC2:TGID_Y_EN: 1
; COMPUTE_PGM_RSRC2:TGID_Z_EN: 1
; COMPUTE_PGM_RSRC2:TIDIG_COMP_CNT: 1
	.section	.AMDGPU.gpr_maximums,"",@progbits
	.set amdgpu.max_num_vgpr, 0
	.set amdgpu.max_num_agpr, 0
	.set amdgpu.max_num_sgpr, 0
	.section	.AMDGPU.csdata,"",@progbits
	.type	__hip_cuid_bf2491c9484b023d,@object ; @__hip_cuid_bf2491c9484b023d
	.section	.bss,"aw",@nobits
	.globl	__hip_cuid_bf2491c9484b023d
__hip_cuid_bf2491c9484b023d:
	.byte	0                               ; 0x0
	.size	__hip_cuid_bf2491c9484b023d, 1

	.ident	"AMD clang version 22.0.0git (https://github.com/RadeonOpenCompute/llvm-project roc-7.2.4 26084 f58b06dce1f9c15707c5f808fd002e18c2accf7e)"
	.section	".note.GNU-stack","",@progbits
	.addrsig
	.addrsig_sym __hip_cuid_bf2491c9484b023d
	.amdgpu_metadata
---
amdhsa.kernels:
  - .args:
      - .offset:         0
        .size:           4
        .value_kind:     by_value
      - .offset:         4
        .size:           4
        .value_kind:     by_value
      - .address_space:  global
        .offset:         8
        .size:           8
        .value_kind:     global_buffer
      - .address_space:  global
        .offset:         16
        .size:           8
        .value_kind:     global_buffer
      - .offset:         24
        .size:           8
        .value_kind:     by_value
      - .offset:         32
        .size:           8
        .value_kind:     by_value
      - .offset:         40
        .size:           8
        .value_kind:     by_value
      - .offset:         48
        .size:           4
        .value_kind:     by_value
      - .offset:         56
        .size:           4
        .value_kind:     hidden_block_count_x
      - .offset:         60
        .size:           4
        .value_kind:     hidden_block_count_y
      - .offset:         64
        .size:           4
        .value_kind:     hidden_block_count_z
      - .offset:         68
        .size:           2
        .value_kind:     hidden_group_size_x
      - .offset:         70
        .size:           2
        .value_kind:     hidden_group_size_y
      - .offset:         72
        .size:           2
        .value_kind:     hidden_group_size_z
      - .offset:         74
        .size:           2
        .value_kind:     hidden_remainder_x
      - .offset:         76
        .size:           2
        .value_kind:     hidden_remainder_y
      - .offset:         78
        .size:           2
        .value_kind:     hidden_remainder_z
      - .offset:         96
        .size:           8
        .value_kind:     hidden_global_offset_x
      - .offset:         104
        .size:           8
        .value_kind:     hidden_global_offset_y
      - .offset:         112
        .size:           8
        .value_kind:     hidden_global_offset_z
      - .offset:         120
        .size:           2
        .value_kind:     hidden_grid_dims
    .group_segment_fixed_size: 0
    .kernarg_segment_align: 8
    .kernarg_segment_size: 312
    .language:       OpenCL C
    .language_version:
      - 2
      - 0
    .max_flat_workgroup_size: 1024
    .name:           _ZL25rocblas_symm_scale_kernelILi128ELi8EPKfPfEviiT1_T2_llli
    .private_segment_fixed_size: 0
    .sgpr_count:     22
    .sgpr_spill_count: 0
    .symbol:         _ZL25rocblas_symm_scale_kernelILi128ELi8EPKfPfEviiT1_T2_llli.kd
    .uniform_work_group_size: 1
    .uses_dynamic_stack: false
    .vgpr_count:     9
    .vgpr_spill_count: 0
    .wavefront_size: 32
    .workgroup_processor_mode: 1
  - .args:
      - .offset:         0
        .size:           1
        .value_kind:     by_value
      - .offset:         4
        .size:           4
        .value_kind:     by_value
      - .offset:         8
        .size:           4
        .value_kind:     by_value
      - .address_space:  global
        .offset:         16
        .size:           8
        .value_kind:     global_buffer
      - .address_space:  global
        .offset:         24
        .size:           8
        .value_kind:     global_buffer
      - .offset:         32
        .size:           8
        .value_kind:     by_value
      - .offset:         40
        .size:           8
        .value_kind:     by_value
      - .offset:         48
        .size:           8
        .value_kind:     by_value
      - .address_space:  global
        .offset:         56
        .size:           8
        .value_kind:     global_buffer
      - .offset:         64
        .size:           8
        .value_kind:     by_value
      - .offset:         72
        .size:           8
        .value_kind:     by_value
      - .offset:         80
        .size:           8
        .value_kind:     by_value
      - .address_space:  global
        .offset:         88
        .size:           8
        .value_kind:     global_buffer
      - .offset:         96
        .size:           8
        .value_kind:     by_value
      - .offset:         104
        .size:           8
        .value_kind:     by_value
      - .offset:         112
        .size:           8
        .value_kind:     by_value
      - .offset:         120
        .size:           4
        .value_kind:     by_value
      - .offset:         128
        .size:           4
        .value_kind:     hidden_block_count_x
      - .offset:         132
        .size:           4
        .value_kind:     hidden_block_count_y
      - .offset:         136
        .size:           4
        .value_kind:     hidden_block_count_z
      - .offset:         140
        .size:           2
        .value_kind:     hidden_group_size_x
      - .offset:         142
        .size:           2
        .value_kind:     hidden_group_size_y
      - .offset:         144
        .size:           2
        .value_kind:     hidden_group_size_z
      - .offset:         146
        .size:           2
        .value_kind:     hidden_remainder_x
      - .offset:         148
        .size:           2
        .value_kind:     hidden_remainder_y
      - .offset:         150
        .size:           2
        .value_kind:     hidden_remainder_z
      - .offset:         168
        .size:           8
        .value_kind:     hidden_global_offset_x
      - .offset:         176
        .size:           8
        .value_kind:     hidden_global_offset_y
      - .offset:         184
        .size:           8
        .value_kind:     hidden_global_offset_z
      - .offset:         192
        .size:           2
        .value_kind:     hidden_grid_dims
    .group_segment_fixed_size: 8192
    .kernarg_segment_align: 8
    .kernarg_segment_size: 384
    .language:       OpenCL C
    .language_version:
      - 2
      - 0
    .max_flat_workgroup_size: 1024
    .name:           _ZL24rocblas_symm_hemm_kernelILb0ELb0ELi32EPKfS1_PfEvbiiT2_T3_lllS4_lllT4_llli
    .private_segment_fixed_size: 0
    .sgpr_count:     43
    .sgpr_spill_count: 0
    .symbol:         _ZL24rocblas_symm_hemm_kernelILb0ELb0ELi32EPKfS1_PfEvbiiT2_T3_lllS4_lllT4_llli.kd
    .uniform_work_group_size: 1
    .uses_dynamic_stack: false
    .vgpr_count:     34
    .vgpr_spill_count: 0
    .wavefront_size: 32
    .workgroup_processor_mode: 1
  - .args:
      - .offset:         0
        .size:           1
        .value_kind:     by_value
      - .offset:         4
        .size:           4
        .value_kind:     by_value
      - .offset:         8
        .size:           4
        .value_kind:     by_value
      - .address_space:  global
        .offset:         16
        .size:           8
        .value_kind:     global_buffer
      - .address_space:  global
        .offset:         24
        .size:           8
        .value_kind:     global_buffer
      - .offset:         32
        .size:           8
        .value_kind:     by_value
      - .offset:         40
        .size:           8
        .value_kind:     by_value
      - .offset:         48
        .size:           8
        .value_kind:     by_value
      - .address_space:  global
        .offset:         56
        .size:           8
        .value_kind:     global_buffer
      - .offset:         64
        .size:           8
        .value_kind:     by_value
      - .offset:         72
        .size:           8
        .value_kind:     by_value
      - .offset:         80
        .size:           8
        .value_kind:     by_value
      - .address_space:  global
        .offset:         88
        .size:           8
        .value_kind:     global_buffer
      - .offset:         96
        .size:           8
        .value_kind:     by_value
      - .offset:         104
        .size:           8
        .value_kind:     by_value
      - .offset:         112
        .size:           8
        .value_kind:     by_value
      - .offset:         120
        .size:           4
        .value_kind:     by_value
      - .offset:         128
        .size:           4
        .value_kind:     hidden_block_count_x
      - .offset:         132
        .size:           4
        .value_kind:     hidden_block_count_y
      - .offset:         136
        .size:           4
        .value_kind:     hidden_block_count_z
      - .offset:         140
        .size:           2
        .value_kind:     hidden_group_size_x
      - .offset:         142
        .size:           2
        .value_kind:     hidden_group_size_y
      - .offset:         144
        .size:           2
        .value_kind:     hidden_group_size_z
      - .offset:         146
        .size:           2
        .value_kind:     hidden_remainder_x
      - .offset:         148
        .size:           2
        .value_kind:     hidden_remainder_y
      - .offset:         150
        .size:           2
        .value_kind:     hidden_remainder_z
      - .offset:         168
        .size:           8
        .value_kind:     hidden_global_offset_x
      - .offset:         176
        .size:           8
        .value_kind:     hidden_global_offset_y
      - .offset:         184
        .size:           8
        .value_kind:     hidden_global_offset_z
      - .offset:         192
        .size:           2
        .value_kind:     hidden_grid_dims
    .group_segment_fixed_size: 8192
    .kernarg_segment_align: 8
    .kernarg_segment_size: 384
    .language:       OpenCL C
    .language_version:
      - 2
      - 0
    .max_flat_workgroup_size: 1024
    .name:           _ZL24rocblas_symm_hemm_kernelILb0ELb1ELi32EPKfS1_PfEvbiiT2_T3_lllS4_lllT4_llli
    .private_segment_fixed_size: 0
    .sgpr_count:     39
    .sgpr_spill_count: 0
    .symbol:         _ZL24rocblas_symm_hemm_kernelILb0ELb1ELi32EPKfS1_PfEvbiiT2_T3_lllS4_lllT4_llli.kd
    .uniform_work_group_size: 1
    .uses_dynamic_stack: false
    .vgpr_count:     36
    .vgpr_spill_count: 0
    .wavefront_size: 32
    .workgroup_processor_mode: 1
  - .args:
      - .offset:         0
        .size:           4
        .value_kind:     by_value
      - .offset:         4
        .size:           4
        .value_kind:     by_value
      - .offset:         8
        .size:           4
        .value_kind:     by_value
      - .address_space:  global
        .offset:         16
        .size:           8
        .value_kind:     global_buffer
      - .offset:         24
        .size:           8
        .value_kind:     by_value
      - .offset:         32
        .size:           8
        .value_kind:     by_value
      - .offset:         40
        .size:           8
        .value_kind:     by_value
      - .offset:         48
        .size:           4
        .value_kind:     by_value
      - .offset:         56
        .size:           4
        .value_kind:     hidden_block_count_x
      - .offset:         60
        .size:           4
        .value_kind:     hidden_block_count_y
      - .offset:         64
        .size:           4
        .value_kind:     hidden_block_count_z
      - .offset:         68
        .size:           2
        .value_kind:     hidden_group_size_x
      - .offset:         70
        .size:           2
        .value_kind:     hidden_group_size_y
      - .offset:         72
        .size:           2
        .value_kind:     hidden_group_size_z
      - .offset:         74
        .size:           2
        .value_kind:     hidden_remainder_x
      - .offset:         76
        .size:           2
        .value_kind:     hidden_remainder_y
      - .offset:         78
        .size:           2
        .value_kind:     hidden_remainder_z
      - .offset:         96
        .size:           8
        .value_kind:     hidden_global_offset_x
      - .offset:         104
        .size:           8
        .value_kind:     hidden_global_offset_y
      - .offset:         112
        .size:           8
        .value_kind:     hidden_global_offset_z
      - .offset:         120
        .size:           2
        .value_kind:     hidden_grid_dims
    .group_segment_fixed_size: 0
    .kernarg_segment_align: 8
    .kernarg_segment_size: 312
    .language:       OpenCL C
    .language_version:
      - 2
      - 0
    .max_flat_workgroup_size: 1024
    .name:           _ZL25rocblas_symm_scale_kernelILi128ELi8EfPfEviiT1_T2_llli
    .private_segment_fixed_size: 0
    .sgpr_count:     22
    .sgpr_spill_count: 0
    .symbol:         _ZL25rocblas_symm_scale_kernelILi128ELi8EfPfEviiT1_T2_llli.kd
    .uniform_work_group_size: 1
    .uses_dynamic_stack: false
    .vgpr_count:     9
    .vgpr_spill_count: 0
    .wavefront_size: 32
    .workgroup_processor_mode: 1
  - .args:
      - .offset:         0
        .size:           1
        .value_kind:     by_value
      - .offset:         4
        .size:           4
        .value_kind:     by_value
      - .offset:         8
        .size:           4
        .value_kind:     by_value
      - .offset:         12
        .size:           4
        .value_kind:     by_value
      - .address_space:  global
        .offset:         16
        .size:           8
        .value_kind:     global_buffer
      - .offset:         24
        .size:           8
        .value_kind:     by_value
      - .offset:         32
        .size:           8
        .value_kind:     by_value
      - .offset:         40
        .size:           8
        .value_kind:     by_value
      - .address_space:  global
        .offset:         48
        .size:           8
        .value_kind:     global_buffer
      - .offset:         56
        .size:           8
        .value_kind:     by_value
      - .offset:         64
        .size:           8
        .value_kind:     by_value
      - .offset:         72
        .size:           8
        .value_kind:     by_value
      - .address_space:  global
        .offset:         80
        .size:           8
        .value_kind:     global_buffer
      - .offset:         88
        .size:           8
        .value_kind:     by_value
      - .offset:         96
        .size:           8
        .value_kind:     by_value
      - .offset:         104
        .size:           8
        .value_kind:     by_value
      - .offset:         112
        .size:           4
        .value_kind:     by_value
      - .offset:         120
        .size:           4
        .value_kind:     hidden_block_count_x
      - .offset:         124
        .size:           4
        .value_kind:     hidden_block_count_y
      - .offset:         128
        .size:           4
        .value_kind:     hidden_block_count_z
      - .offset:         132
        .size:           2
        .value_kind:     hidden_group_size_x
      - .offset:         134
        .size:           2
        .value_kind:     hidden_group_size_y
      - .offset:         136
        .size:           2
        .value_kind:     hidden_group_size_z
      - .offset:         138
        .size:           2
        .value_kind:     hidden_remainder_x
      - .offset:         140
        .size:           2
        .value_kind:     hidden_remainder_y
      - .offset:         142
        .size:           2
        .value_kind:     hidden_remainder_z
      - .offset:         160
        .size:           8
        .value_kind:     hidden_global_offset_x
      - .offset:         168
        .size:           8
        .value_kind:     hidden_global_offset_y
      - .offset:         176
        .size:           8
        .value_kind:     hidden_global_offset_z
      - .offset:         184
        .size:           2
        .value_kind:     hidden_grid_dims
    .group_segment_fixed_size: 8192
    .kernarg_segment_align: 8
    .kernarg_segment_size: 376
    .language:       OpenCL C
    .language_version:
      - 2
      - 0
    .max_flat_workgroup_size: 1024
    .name:           _ZL24rocblas_symm_hemm_kernelILb0ELb0ELi32EfPKfPfEvbiiT2_T3_lllS4_lllT4_llli
    .private_segment_fixed_size: 0
    .sgpr_count:     43
    .sgpr_spill_count: 0
    .symbol:         _ZL24rocblas_symm_hemm_kernelILb0ELb0ELi32EfPKfPfEvbiiT2_T3_lllS4_lllT4_llli.kd
    .uniform_work_group_size: 1
    .uses_dynamic_stack: false
    .vgpr_count:     34
    .vgpr_spill_count: 0
    .wavefront_size: 32
    .workgroup_processor_mode: 1
  - .args:
      - .offset:         0
        .size:           1
        .value_kind:     by_value
      - .offset:         4
        .size:           4
        .value_kind:     by_value
      - .offset:         8
        .size:           4
        .value_kind:     by_value
      - .offset:         12
        .size:           4
        .value_kind:     by_value
      - .address_space:  global
        .offset:         16
        .size:           8
        .value_kind:     global_buffer
      - .offset:         24
        .size:           8
        .value_kind:     by_value
      - .offset:         32
        .size:           8
        .value_kind:     by_value
      - .offset:         40
        .size:           8
        .value_kind:     by_value
      - .address_space:  global
        .offset:         48
        .size:           8
        .value_kind:     global_buffer
      - .offset:         56
        .size:           8
        .value_kind:     by_value
      - .offset:         64
        .size:           8
        .value_kind:     by_value
      - .offset:         72
        .size:           8
        .value_kind:     by_value
      - .address_space:  global
        .offset:         80
        .size:           8
        .value_kind:     global_buffer
      - .offset:         88
        .size:           8
        .value_kind:     by_value
      - .offset:         96
        .size:           8
        .value_kind:     by_value
      - .offset:         104
        .size:           8
        .value_kind:     by_value
      - .offset:         112
        .size:           4
        .value_kind:     by_value
      - .offset:         120
        .size:           4
        .value_kind:     hidden_block_count_x
      - .offset:         124
        .size:           4
        .value_kind:     hidden_block_count_y
      - .offset:         128
        .size:           4
        .value_kind:     hidden_block_count_z
      - .offset:         132
        .size:           2
        .value_kind:     hidden_group_size_x
      - .offset:         134
        .size:           2
        .value_kind:     hidden_group_size_y
      - .offset:         136
        .size:           2
        .value_kind:     hidden_group_size_z
      - .offset:         138
        .size:           2
        .value_kind:     hidden_remainder_x
      - .offset:         140
        .size:           2
        .value_kind:     hidden_remainder_y
      - .offset:         142
        .size:           2
        .value_kind:     hidden_remainder_z
      - .offset:         160
        .size:           8
        .value_kind:     hidden_global_offset_x
      - .offset:         168
        .size:           8
        .value_kind:     hidden_global_offset_y
      - .offset:         176
        .size:           8
        .value_kind:     hidden_global_offset_z
      - .offset:         184
        .size:           2
        .value_kind:     hidden_grid_dims
    .group_segment_fixed_size: 8192
    .kernarg_segment_align: 8
    .kernarg_segment_size: 376
    .language:       OpenCL C
    .language_version:
      - 2
      - 0
    .max_flat_workgroup_size: 1024
    .name:           _ZL24rocblas_symm_hemm_kernelILb0ELb1ELi32EfPKfPfEvbiiT2_T3_lllS4_lllT4_llli
    .private_segment_fixed_size: 0
    .sgpr_count:     38
    .sgpr_spill_count: 0
    .symbol:         _ZL24rocblas_symm_hemm_kernelILb0ELb1ELi32EfPKfPfEvbiiT2_T3_lllS4_lllT4_llli.kd
    .uniform_work_group_size: 1
    .uses_dynamic_stack: false
    .vgpr_count:     36
    .vgpr_spill_count: 0
    .wavefront_size: 32
    .workgroup_processor_mode: 1
  - .args:
      - .offset:         0
        .size:           4
        .value_kind:     by_value
      - .offset:         4
        .size:           4
        .value_kind:     by_value
      - .address_space:  global
        .offset:         8
        .size:           8
        .value_kind:     global_buffer
      - .address_space:  global
        .offset:         16
        .size:           8
        .value_kind:     global_buffer
      - .offset:         24
        .size:           8
        .value_kind:     by_value
      - .offset:         32
        .size:           8
        .value_kind:     by_value
      - .offset:         40
        .size:           8
        .value_kind:     by_value
      - .offset:         48
        .size:           4
        .value_kind:     by_value
      - .offset:         56
        .size:           4
        .value_kind:     hidden_block_count_x
      - .offset:         60
        .size:           4
        .value_kind:     hidden_block_count_y
      - .offset:         64
        .size:           4
        .value_kind:     hidden_block_count_z
      - .offset:         68
        .size:           2
        .value_kind:     hidden_group_size_x
      - .offset:         70
        .size:           2
        .value_kind:     hidden_group_size_y
      - .offset:         72
        .size:           2
        .value_kind:     hidden_group_size_z
      - .offset:         74
        .size:           2
        .value_kind:     hidden_remainder_x
      - .offset:         76
        .size:           2
        .value_kind:     hidden_remainder_y
      - .offset:         78
        .size:           2
        .value_kind:     hidden_remainder_z
      - .offset:         96
        .size:           8
        .value_kind:     hidden_global_offset_x
      - .offset:         104
        .size:           8
        .value_kind:     hidden_global_offset_y
      - .offset:         112
        .size:           8
        .value_kind:     hidden_global_offset_z
      - .offset:         120
        .size:           2
        .value_kind:     hidden_grid_dims
    .group_segment_fixed_size: 0
    .kernarg_segment_align: 8
    .kernarg_segment_size: 312
    .language:       OpenCL C
    .language_version:
      - 2
      - 0
    .max_flat_workgroup_size: 1024
    .name:           _ZL25rocblas_symm_scale_kernelILi128ELi8EPKdPdEviiT1_T2_llli
    .private_segment_fixed_size: 0
    .sgpr_count:     23
    .sgpr_spill_count: 0
    .symbol:         _ZL25rocblas_symm_scale_kernelILi128ELi8EPKdPdEviiT1_T2_llli.kd
    .uniform_work_group_size: 1
    .uses_dynamic_stack: false
    .vgpr_count:     11
    .vgpr_spill_count: 0
    .wavefront_size: 32
    .workgroup_processor_mode: 1
  - .args:
      - .offset:         0
        .size:           1
        .value_kind:     by_value
      - .offset:         4
        .size:           4
        .value_kind:     by_value
      - .offset:         8
        .size:           4
        .value_kind:     by_value
      - .address_space:  global
        .offset:         16
        .size:           8
        .value_kind:     global_buffer
      - .address_space:  global
        .offset:         24
        .size:           8
        .value_kind:     global_buffer
      - .offset:         32
        .size:           8
        .value_kind:     by_value
      - .offset:         40
        .size:           8
        .value_kind:     by_value
      - .offset:         48
        .size:           8
        .value_kind:     by_value
      - .address_space:  global
        .offset:         56
        .size:           8
        .value_kind:     global_buffer
      - .offset:         64
        .size:           8
        .value_kind:     by_value
      - .offset:         72
        .size:           8
        .value_kind:     by_value
      - .offset:         80
        .size:           8
        .value_kind:     by_value
      - .address_space:  global
        .offset:         88
        .size:           8
        .value_kind:     global_buffer
      - .offset:         96
        .size:           8
        .value_kind:     by_value
      - .offset:         104
        .size:           8
        .value_kind:     by_value
      - .offset:         112
        .size:           8
        .value_kind:     by_value
      - .offset:         120
        .size:           4
        .value_kind:     by_value
      - .offset:         128
        .size:           4
        .value_kind:     hidden_block_count_x
      - .offset:         132
        .size:           4
        .value_kind:     hidden_block_count_y
      - .offset:         136
        .size:           4
        .value_kind:     hidden_block_count_z
      - .offset:         140
        .size:           2
        .value_kind:     hidden_group_size_x
      - .offset:         142
        .size:           2
        .value_kind:     hidden_group_size_y
      - .offset:         144
        .size:           2
        .value_kind:     hidden_group_size_z
      - .offset:         146
        .size:           2
        .value_kind:     hidden_remainder_x
      - .offset:         148
        .size:           2
        .value_kind:     hidden_remainder_y
      - .offset:         150
        .size:           2
        .value_kind:     hidden_remainder_z
      - .offset:         168
        .size:           8
        .value_kind:     hidden_global_offset_x
      - .offset:         176
        .size:           8
        .value_kind:     hidden_global_offset_y
      - .offset:         184
        .size:           8
        .value_kind:     hidden_global_offset_z
      - .offset:         192
        .size:           2
        .value_kind:     hidden_grid_dims
    .group_segment_fixed_size: 16384
    .kernarg_segment_align: 8
    .kernarg_segment_size: 384
    .language:       OpenCL C
    .language_version:
      - 2
      - 0
    .max_flat_workgroup_size: 1024
    .name:           _ZL24rocblas_symm_hemm_kernelILb0ELb0ELi32EPKdS1_PdEvbiiT2_T3_lllS4_lllT4_llli
    .private_segment_fixed_size: 0
    .sgpr_count:     44
    .sgpr_spill_count: 0
    .symbol:         _ZL24rocblas_symm_hemm_kernelILb0ELb0ELi32EPKdS1_PdEvbiiT2_T3_lllS4_lllT4_llli.kd
    .uniform_work_group_size: 1
    .uses_dynamic_stack: false
    .vgpr_count:     35
    .vgpr_spill_count: 0
    .wavefront_size: 32
    .workgroup_processor_mode: 1
  - .args:
      - .offset:         0
        .size:           1
        .value_kind:     by_value
      - .offset:         4
        .size:           4
        .value_kind:     by_value
      - .offset:         8
        .size:           4
        .value_kind:     by_value
      - .address_space:  global
        .offset:         16
        .size:           8
        .value_kind:     global_buffer
      - .address_space:  global
        .offset:         24
        .size:           8
        .value_kind:     global_buffer
      - .offset:         32
        .size:           8
        .value_kind:     by_value
      - .offset:         40
        .size:           8
        .value_kind:     by_value
      - .offset:         48
        .size:           8
        .value_kind:     by_value
      - .address_space:  global
        .offset:         56
        .size:           8
        .value_kind:     global_buffer
      - .offset:         64
        .size:           8
        .value_kind:     by_value
      - .offset:         72
        .size:           8
        .value_kind:     by_value
      - .offset:         80
        .size:           8
        .value_kind:     by_value
      - .address_space:  global
        .offset:         88
        .size:           8
        .value_kind:     global_buffer
      - .offset:         96
        .size:           8
        .value_kind:     by_value
      - .offset:         104
        .size:           8
        .value_kind:     by_value
      - .offset:         112
        .size:           8
        .value_kind:     by_value
      - .offset:         120
        .size:           4
        .value_kind:     by_value
      - .offset:         128
        .size:           4
        .value_kind:     hidden_block_count_x
      - .offset:         132
        .size:           4
        .value_kind:     hidden_block_count_y
      - .offset:         136
        .size:           4
        .value_kind:     hidden_block_count_z
      - .offset:         140
        .size:           2
        .value_kind:     hidden_group_size_x
      - .offset:         142
        .size:           2
        .value_kind:     hidden_group_size_y
      - .offset:         144
        .size:           2
        .value_kind:     hidden_group_size_z
      - .offset:         146
        .size:           2
        .value_kind:     hidden_remainder_x
      - .offset:         148
        .size:           2
        .value_kind:     hidden_remainder_y
      - .offset:         150
        .size:           2
        .value_kind:     hidden_remainder_z
      - .offset:         168
        .size:           8
        .value_kind:     hidden_global_offset_x
      - .offset:         176
        .size:           8
        .value_kind:     hidden_global_offset_y
      - .offset:         184
        .size:           8
        .value_kind:     hidden_global_offset_z
      - .offset:         192
        .size:           2
        .value_kind:     hidden_grid_dims
    .group_segment_fixed_size: 16384
    .kernarg_segment_align: 8
    .kernarg_segment_size: 384
    .language:       OpenCL C
    .language_version:
      - 2
      - 0
    .max_flat_workgroup_size: 1024
    .name:           _ZL24rocblas_symm_hemm_kernelILb0ELb1ELi32EPKdS1_PdEvbiiT2_T3_lllS4_lllT4_llli
    .private_segment_fixed_size: 0
    .sgpr_count:     40
    .sgpr_spill_count: 0
    .symbol:         _ZL24rocblas_symm_hemm_kernelILb0ELb1ELi32EPKdS1_PdEvbiiT2_T3_lllS4_lllT4_llli.kd
    .uniform_work_group_size: 1
    .uses_dynamic_stack: false
    .vgpr_count:     37
    .vgpr_spill_count: 0
    .wavefront_size: 32
    .workgroup_processor_mode: 1
  - .args:
      - .offset:         0
        .size:           4
        .value_kind:     by_value
      - .offset:         4
        .size:           4
        .value_kind:     by_value
      - .offset:         8
        .size:           8
        .value_kind:     by_value
      - .address_space:  global
        .offset:         16
        .size:           8
        .value_kind:     global_buffer
      - .offset:         24
        .size:           8
        .value_kind:     by_value
      - .offset:         32
        .size:           8
        .value_kind:     by_value
      - .offset:         40
        .size:           8
        .value_kind:     by_value
      - .offset:         48
        .size:           4
        .value_kind:     by_value
      - .offset:         56
        .size:           4
        .value_kind:     hidden_block_count_x
      - .offset:         60
        .size:           4
        .value_kind:     hidden_block_count_y
      - .offset:         64
        .size:           4
        .value_kind:     hidden_block_count_z
      - .offset:         68
        .size:           2
        .value_kind:     hidden_group_size_x
      - .offset:         70
        .size:           2
        .value_kind:     hidden_group_size_y
      - .offset:         72
        .size:           2
        .value_kind:     hidden_group_size_z
      - .offset:         74
        .size:           2
        .value_kind:     hidden_remainder_x
      - .offset:         76
        .size:           2
        .value_kind:     hidden_remainder_y
      - .offset:         78
        .size:           2
        .value_kind:     hidden_remainder_z
      - .offset:         96
        .size:           8
        .value_kind:     hidden_global_offset_x
      - .offset:         104
        .size:           8
        .value_kind:     hidden_global_offset_y
      - .offset:         112
        .size:           8
        .value_kind:     hidden_global_offset_z
      - .offset:         120
        .size:           2
        .value_kind:     hidden_grid_dims
    .group_segment_fixed_size: 0
    .kernarg_segment_align: 8
    .kernarg_segment_size: 312
    .language:       OpenCL C
    .language_version:
      - 2
      - 0
    .max_flat_workgroup_size: 1024
    .name:           _ZL25rocblas_symm_scale_kernelILi128ELi8EdPdEviiT1_T2_llli
    .private_segment_fixed_size: 0
    .sgpr_count:     23
    .sgpr_spill_count: 0
    .symbol:         _ZL25rocblas_symm_scale_kernelILi128ELi8EdPdEviiT1_T2_llli.kd
    .uniform_work_group_size: 1
    .uses_dynamic_stack: false
    .vgpr_count:     11
    .vgpr_spill_count: 0
    .wavefront_size: 32
    .workgroup_processor_mode: 1
  - .args:
      - .offset:         0
        .size:           1
        .value_kind:     by_value
      - .offset:         4
        .size:           4
        .value_kind:     by_value
      - .offset:         8
        .size:           4
        .value_kind:     by_value
      - .offset:         16
        .size:           8
        .value_kind:     by_value
      - .address_space:  global
        .offset:         24
        .size:           8
        .value_kind:     global_buffer
      - .offset:         32
        .size:           8
        .value_kind:     by_value
      - .offset:         40
        .size:           8
        .value_kind:     by_value
      - .offset:         48
        .size:           8
        .value_kind:     by_value
      - .address_space:  global
        .offset:         56
        .size:           8
        .value_kind:     global_buffer
      - .offset:         64
        .size:           8
        .value_kind:     by_value
      - .offset:         72
        .size:           8
        .value_kind:     by_value
      - .offset:         80
        .size:           8
        .value_kind:     by_value
      - .address_space:  global
        .offset:         88
        .size:           8
        .value_kind:     global_buffer
      - .offset:         96
        .size:           8
        .value_kind:     by_value
      - .offset:         104
        .size:           8
        .value_kind:     by_value
      - .offset:         112
        .size:           8
        .value_kind:     by_value
      - .offset:         120
        .size:           4
        .value_kind:     by_value
      - .offset:         128
        .size:           4
        .value_kind:     hidden_block_count_x
      - .offset:         132
        .size:           4
        .value_kind:     hidden_block_count_y
      - .offset:         136
        .size:           4
        .value_kind:     hidden_block_count_z
      - .offset:         140
        .size:           2
        .value_kind:     hidden_group_size_x
      - .offset:         142
        .size:           2
        .value_kind:     hidden_group_size_y
      - .offset:         144
        .size:           2
        .value_kind:     hidden_group_size_z
      - .offset:         146
        .size:           2
        .value_kind:     hidden_remainder_x
      - .offset:         148
        .size:           2
        .value_kind:     hidden_remainder_y
      - .offset:         150
        .size:           2
        .value_kind:     hidden_remainder_z
      - .offset:         168
        .size:           8
        .value_kind:     hidden_global_offset_x
      - .offset:         176
        .size:           8
        .value_kind:     hidden_global_offset_y
      - .offset:         184
        .size:           8
        .value_kind:     hidden_global_offset_z
      - .offset:         192
        .size:           2
        .value_kind:     hidden_grid_dims
    .group_segment_fixed_size: 16384
    .kernarg_segment_align: 8
    .kernarg_segment_size: 384
    .language:       OpenCL C
    .language_version:
      - 2
      - 0
    .max_flat_workgroup_size: 1024
    .name:           _ZL24rocblas_symm_hemm_kernelILb0ELb0ELi32EdPKdPdEvbiiT2_T3_lllS4_lllT4_llli
    .private_segment_fixed_size: 0
    .sgpr_count:     44
    .sgpr_spill_count: 0
    .symbol:         _ZL24rocblas_symm_hemm_kernelILb0ELb0ELi32EdPKdPdEvbiiT2_T3_lllS4_lllT4_llli.kd
    .uniform_work_group_size: 1
    .uses_dynamic_stack: false
    .vgpr_count:     35
    .vgpr_spill_count: 0
    .wavefront_size: 32
    .workgroup_processor_mode: 1
  - .args:
      - .offset:         0
        .size:           1
        .value_kind:     by_value
      - .offset:         4
        .size:           4
        .value_kind:     by_value
      - .offset:         8
        .size:           4
        .value_kind:     by_value
      - .offset:         16
        .size:           8
        .value_kind:     by_value
      - .address_space:  global
        .offset:         24
        .size:           8
        .value_kind:     global_buffer
      - .offset:         32
        .size:           8
        .value_kind:     by_value
      - .offset:         40
        .size:           8
        .value_kind:     by_value
      - .offset:         48
        .size:           8
        .value_kind:     by_value
      - .address_space:  global
        .offset:         56
        .size:           8
        .value_kind:     global_buffer
      - .offset:         64
        .size:           8
        .value_kind:     by_value
      - .offset:         72
        .size:           8
        .value_kind:     by_value
      - .offset:         80
        .size:           8
        .value_kind:     by_value
      - .address_space:  global
        .offset:         88
        .size:           8
        .value_kind:     global_buffer
      - .offset:         96
        .size:           8
        .value_kind:     by_value
      - .offset:         104
        .size:           8
        .value_kind:     by_value
      - .offset:         112
        .size:           8
        .value_kind:     by_value
      - .offset:         120
        .size:           4
        .value_kind:     by_value
      - .offset:         128
        .size:           4
        .value_kind:     hidden_block_count_x
      - .offset:         132
        .size:           4
        .value_kind:     hidden_block_count_y
      - .offset:         136
        .size:           4
        .value_kind:     hidden_block_count_z
      - .offset:         140
        .size:           2
        .value_kind:     hidden_group_size_x
      - .offset:         142
        .size:           2
        .value_kind:     hidden_group_size_y
      - .offset:         144
        .size:           2
        .value_kind:     hidden_group_size_z
      - .offset:         146
        .size:           2
        .value_kind:     hidden_remainder_x
      - .offset:         148
        .size:           2
        .value_kind:     hidden_remainder_y
      - .offset:         150
        .size:           2
        .value_kind:     hidden_remainder_z
      - .offset:         168
        .size:           8
        .value_kind:     hidden_global_offset_x
      - .offset:         176
        .size:           8
        .value_kind:     hidden_global_offset_y
      - .offset:         184
        .size:           8
        .value_kind:     hidden_global_offset_z
      - .offset:         192
        .size:           2
        .value_kind:     hidden_grid_dims
    .group_segment_fixed_size: 16384
    .kernarg_segment_align: 8
    .kernarg_segment_size: 384
    .language:       OpenCL C
    .language_version:
      - 2
      - 0
    .max_flat_workgroup_size: 1024
    .name:           _ZL24rocblas_symm_hemm_kernelILb0ELb1ELi32EdPKdPdEvbiiT2_T3_lllS4_lllT4_llli
    .private_segment_fixed_size: 0
    .sgpr_count:     40
    .sgpr_spill_count: 0
    .symbol:         _ZL24rocblas_symm_hemm_kernelILb0ELb1ELi32EdPKdPdEvbiiT2_T3_lllS4_lllT4_llli.kd
    .uniform_work_group_size: 1
    .uses_dynamic_stack: false
    .vgpr_count:     37
    .vgpr_spill_count: 0
    .wavefront_size: 32
    .workgroup_processor_mode: 1
  - .args:
      - .offset:         0
        .size:           4
        .value_kind:     by_value
      - .offset:         4
        .size:           4
        .value_kind:     by_value
      - .address_space:  global
        .offset:         8
        .size:           8
        .value_kind:     global_buffer
      - .address_space:  global
        .offset:         16
        .size:           8
        .value_kind:     global_buffer
      - .offset:         24
        .size:           8
        .value_kind:     by_value
      - .offset:         32
        .size:           8
        .value_kind:     by_value
      - .offset:         40
        .size:           8
        .value_kind:     by_value
      - .offset:         48
        .size:           4
        .value_kind:     by_value
      - .offset:         56
        .size:           4
        .value_kind:     hidden_block_count_x
      - .offset:         60
        .size:           4
        .value_kind:     hidden_block_count_y
      - .offset:         64
        .size:           4
        .value_kind:     hidden_block_count_z
      - .offset:         68
        .size:           2
        .value_kind:     hidden_group_size_x
      - .offset:         70
        .size:           2
        .value_kind:     hidden_group_size_y
      - .offset:         72
        .size:           2
        .value_kind:     hidden_group_size_z
      - .offset:         74
        .size:           2
        .value_kind:     hidden_remainder_x
      - .offset:         76
        .size:           2
        .value_kind:     hidden_remainder_y
      - .offset:         78
        .size:           2
        .value_kind:     hidden_remainder_z
      - .offset:         96
        .size:           8
        .value_kind:     hidden_global_offset_x
      - .offset:         104
        .size:           8
        .value_kind:     hidden_global_offset_y
      - .offset:         112
        .size:           8
        .value_kind:     hidden_global_offset_z
      - .offset:         120
        .size:           2
        .value_kind:     hidden_grid_dims
    .group_segment_fixed_size: 0
    .kernarg_segment_align: 8
    .kernarg_segment_size: 312
    .language:       OpenCL C
    .language_version:
      - 2
      - 0
    .max_flat_workgroup_size: 1024
    .name:           _ZL25rocblas_symm_scale_kernelILi128ELi8EPK19rocblas_complex_numIfEPS1_EviiT1_T2_llli
    .private_segment_fixed_size: 0
    .sgpr_count:     23
    .sgpr_spill_count: 0
    .symbol:         _ZL25rocblas_symm_scale_kernelILi128ELi8EPK19rocblas_complex_numIfEPS1_EviiT1_T2_llli.kd
    .uniform_work_group_size: 1
    .uses_dynamic_stack: false
    .vgpr_count:     13
    .vgpr_spill_count: 0
    .wavefront_size: 32
    .workgroup_processor_mode: 1
  - .args:
      - .offset:         0
        .size:           1
        .value_kind:     by_value
      - .offset:         4
        .size:           4
        .value_kind:     by_value
      - .offset:         8
        .size:           4
        .value_kind:     by_value
      - .address_space:  global
        .offset:         16
        .size:           8
        .value_kind:     global_buffer
      - .address_space:  global
        .offset:         24
        .size:           8
        .value_kind:     global_buffer
      - .offset:         32
        .size:           8
        .value_kind:     by_value
      - .offset:         40
        .size:           8
        .value_kind:     by_value
      - .offset:         48
        .size:           8
        .value_kind:     by_value
      - .address_space:  global
        .offset:         56
        .size:           8
        .value_kind:     global_buffer
      - .offset:         64
        .size:           8
        .value_kind:     by_value
      - .offset:         72
        .size:           8
        .value_kind:     by_value
      - .offset:         80
        .size:           8
        .value_kind:     by_value
      - .address_space:  global
        .offset:         88
        .size:           8
        .value_kind:     global_buffer
      - .offset:         96
        .size:           8
        .value_kind:     by_value
      - .offset:         104
        .size:           8
        .value_kind:     by_value
      - .offset:         112
        .size:           8
        .value_kind:     by_value
      - .offset:         120
        .size:           4
        .value_kind:     by_value
      - .offset:         128
        .size:           4
        .value_kind:     hidden_block_count_x
      - .offset:         132
        .size:           4
        .value_kind:     hidden_block_count_y
      - .offset:         136
        .size:           4
        .value_kind:     hidden_block_count_z
      - .offset:         140
        .size:           2
        .value_kind:     hidden_group_size_x
      - .offset:         142
        .size:           2
        .value_kind:     hidden_group_size_y
      - .offset:         144
        .size:           2
        .value_kind:     hidden_group_size_z
      - .offset:         146
        .size:           2
        .value_kind:     hidden_remainder_x
      - .offset:         148
        .size:           2
        .value_kind:     hidden_remainder_y
      - .offset:         150
        .size:           2
        .value_kind:     hidden_remainder_z
      - .offset:         168
        .size:           8
        .value_kind:     hidden_global_offset_x
      - .offset:         176
        .size:           8
        .value_kind:     hidden_global_offset_y
      - .offset:         184
        .size:           8
        .value_kind:     hidden_global_offset_z
      - .offset:         192
        .size:           2
        .value_kind:     hidden_grid_dims
    .group_segment_fixed_size: 16384
    .kernarg_segment_align: 8
    .kernarg_segment_size: 384
    .language:       OpenCL C
    .language_version:
      - 2
      - 0
    .max_flat_workgroup_size: 1024
    .name:           _ZL24rocblas_symm_hemm_kernelILb0ELb0ELi32EPK19rocblas_complex_numIfES3_PS1_EvbiiT2_T3_lllS6_lllT4_llli
    .private_segment_fixed_size: 0
    .sgpr_count:     44
    .sgpr_spill_count: 0
    .symbol:         _ZL24rocblas_symm_hemm_kernelILb0ELb0ELi32EPK19rocblas_complex_numIfES3_PS1_EvbiiT2_T3_lllS6_lllT4_llli.kd
    .uniform_work_group_size: 1
    .uses_dynamic_stack: false
    .vgpr_count:     134
    .vgpr_spill_count: 0
    .wavefront_size: 32
    .workgroup_processor_mode: 1
  - .args:
      - .offset:         0
        .size:           1
        .value_kind:     by_value
      - .offset:         4
        .size:           4
        .value_kind:     by_value
      - .offset:         8
        .size:           4
        .value_kind:     by_value
      - .address_space:  global
        .offset:         16
        .size:           8
        .value_kind:     global_buffer
      - .address_space:  global
        .offset:         24
        .size:           8
        .value_kind:     global_buffer
      - .offset:         32
        .size:           8
        .value_kind:     by_value
      - .offset:         40
        .size:           8
        .value_kind:     by_value
      - .offset:         48
        .size:           8
        .value_kind:     by_value
      - .address_space:  global
        .offset:         56
        .size:           8
        .value_kind:     global_buffer
      - .offset:         64
        .size:           8
        .value_kind:     by_value
      - .offset:         72
        .size:           8
        .value_kind:     by_value
      - .offset:         80
        .size:           8
        .value_kind:     by_value
      - .address_space:  global
        .offset:         88
        .size:           8
        .value_kind:     global_buffer
      - .offset:         96
        .size:           8
        .value_kind:     by_value
      - .offset:         104
        .size:           8
        .value_kind:     by_value
      - .offset:         112
        .size:           8
        .value_kind:     by_value
      - .offset:         120
        .size:           4
        .value_kind:     by_value
      - .offset:         128
        .size:           4
        .value_kind:     hidden_block_count_x
      - .offset:         132
        .size:           4
        .value_kind:     hidden_block_count_y
      - .offset:         136
        .size:           4
        .value_kind:     hidden_block_count_z
      - .offset:         140
        .size:           2
        .value_kind:     hidden_group_size_x
      - .offset:         142
        .size:           2
        .value_kind:     hidden_group_size_y
      - .offset:         144
        .size:           2
        .value_kind:     hidden_group_size_z
      - .offset:         146
        .size:           2
        .value_kind:     hidden_remainder_x
      - .offset:         148
        .size:           2
        .value_kind:     hidden_remainder_y
      - .offset:         150
        .size:           2
        .value_kind:     hidden_remainder_z
      - .offset:         168
        .size:           8
        .value_kind:     hidden_global_offset_x
      - .offset:         176
        .size:           8
        .value_kind:     hidden_global_offset_y
      - .offset:         184
        .size:           8
        .value_kind:     hidden_global_offset_z
      - .offset:         192
        .size:           2
        .value_kind:     hidden_grid_dims
    .group_segment_fixed_size: 16384
    .kernarg_segment_align: 8
    .kernarg_segment_size: 384
    .language:       OpenCL C
    .language_version:
      - 2
      - 0
    .max_flat_workgroup_size: 1024
    .name:           _ZL24rocblas_symm_hemm_kernelILb0ELb1ELi32EPK19rocblas_complex_numIfES3_PS1_EvbiiT2_T3_lllS6_lllT4_llli
    .private_segment_fixed_size: 0
    .sgpr_count:     40
    .sgpr_spill_count: 0
    .symbol:         _ZL24rocblas_symm_hemm_kernelILb0ELb1ELi32EPK19rocblas_complex_numIfES3_PS1_EvbiiT2_T3_lllS6_lllT4_llli.kd
    .uniform_work_group_size: 1
    .uses_dynamic_stack: false
    .vgpr_count:     136
    .vgpr_spill_count: 0
    .wavefront_size: 32
    .workgroup_processor_mode: 1
  - .args:
      - .offset:         0
        .size:           4
        .value_kind:     by_value
      - .offset:         4
        .size:           4
        .value_kind:     by_value
      - .offset:         8
        .size:           8
        .value_kind:     by_value
      - .address_space:  global
        .offset:         16
        .size:           8
        .value_kind:     global_buffer
      - .offset:         24
        .size:           8
        .value_kind:     by_value
      - .offset:         32
        .size:           8
        .value_kind:     by_value
      - .offset:         40
        .size:           8
        .value_kind:     by_value
      - .offset:         48
        .size:           4
        .value_kind:     by_value
      - .offset:         56
        .size:           4
        .value_kind:     hidden_block_count_x
      - .offset:         60
        .size:           4
        .value_kind:     hidden_block_count_y
      - .offset:         64
        .size:           4
        .value_kind:     hidden_block_count_z
      - .offset:         68
        .size:           2
        .value_kind:     hidden_group_size_x
      - .offset:         70
        .size:           2
        .value_kind:     hidden_group_size_y
      - .offset:         72
        .size:           2
        .value_kind:     hidden_group_size_z
      - .offset:         74
        .size:           2
        .value_kind:     hidden_remainder_x
      - .offset:         76
        .size:           2
        .value_kind:     hidden_remainder_y
      - .offset:         78
        .size:           2
        .value_kind:     hidden_remainder_z
      - .offset:         96
        .size:           8
        .value_kind:     hidden_global_offset_x
      - .offset:         104
        .size:           8
        .value_kind:     hidden_global_offset_y
      - .offset:         112
        .size:           8
        .value_kind:     hidden_global_offset_z
      - .offset:         120
        .size:           2
        .value_kind:     hidden_grid_dims
    .group_segment_fixed_size: 0
    .kernarg_segment_align: 8
    .kernarg_segment_size: 312
    .language:       OpenCL C
    .language_version:
      - 2
      - 0
    .max_flat_workgroup_size: 1024
    .name:           _ZL25rocblas_symm_scale_kernelILi128ELi8E19rocblas_complex_numIfEPS1_EviiT1_T2_llli
    .private_segment_fixed_size: 0
    .sgpr_count:     23
    .sgpr_spill_count: 0
    .symbol:         _ZL25rocblas_symm_scale_kernelILi128ELi8E19rocblas_complex_numIfEPS1_EviiT1_T2_llli.kd
    .uniform_work_group_size: 1
    .uses_dynamic_stack: false
    .vgpr_count:     13
    .vgpr_spill_count: 0
    .wavefront_size: 32
    .workgroup_processor_mode: 1
  - .args:
      - .offset:         0
        .size:           1
        .value_kind:     by_value
      - .offset:         4
        .size:           4
        .value_kind:     by_value
      - .offset:         8
        .size:           4
        .value_kind:     by_value
      - .offset:         12
        .size:           8
        .value_kind:     by_value
      - .address_space:  global
        .offset:         24
        .size:           8
        .value_kind:     global_buffer
      - .offset:         32
        .size:           8
        .value_kind:     by_value
      - .offset:         40
        .size:           8
        .value_kind:     by_value
      - .offset:         48
        .size:           8
        .value_kind:     by_value
      - .address_space:  global
        .offset:         56
        .size:           8
        .value_kind:     global_buffer
      - .offset:         64
        .size:           8
        .value_kind:     by_value
      - .offset:         72
        .size:           8
        .value_kind:     by_value
      - .offset:         80
        .size:           8
        .value_kind:     by_value
      - .address_space:  global
        .offset:         88
        .size:           8
        .value_kind:     global_buffer
      - .offset:         96
        .size:           8
        .value_kind:     by_value
      - .offset:         104
        .size:           8
        .value_kind:     by_value
      - .offset:         112
        .size:           8
        .value_kind:     by_value
      - .offset:         120
        .size:           4
        .value_kind:     by_value
      - .offset:         128
        .size:           4
        .value_kind:     hidden_block_count_x
      - .offset:         132
        .size:           4
        .value_kind:     hidden_block_count_y
      - .offset:         136
        .size:           4
        .value_kind:     hidden_block_count_z
      - .offset:         140
        .size:           2
        .value_kind:     hidden_group_size_x
      - .offset:         142
        .size:           2
        .value_kind:     hidden_group_size_y
      - .offset:         144
        .size:           2
        .value_kind:     hidden_group_size_z
      - .offset:         146
        .size:           2
        .value_kind:     hidden_remainder_x
      - .offset:         148
        .size:           2
        .value_kind:     hidden_remainder_y
      - .offset:         150
        .size:           2
        .value_kind:     hidden_remainder_z
      - .offset:         168
        .size:           8
        .value_kind:     hidden_global_offset_x
      - .offset:         176
        .size:           8
        .value_kind:     hidden_global_offset_y
      - .offset:         184
        .size:           8
        .value_kind:     hidden_global_offset_z
      - .offset:         192
        .size:           2
        .value_kind:     hidden_grid_dims
    .group_segment_fixed_size: 16384
    .kernarg_segment_align: 8
    .kernarg_segment_size: 384
    .language:       OpenCL C
    .language_version:
      - 2
      - 0
    .max_flat_workgroup_size: 1024
    .name:           _ZL24rocblas_symm_hemm_kernelILb0ELb0ELi32E19rocblas_complex_numIfEPKS1_PS1_EvbiiT2_T3_lllS6_lllT4_llli
    .private_segment_fixed_size: 0
    .sgpr_count:     44
    .sgpr_spill_count: 0
    .symbol:         _ZL24rocblas_symm_hemm_kernelILb0ELb0ELi32E19rocblas_complex_numIfEPKS1_PS1_EvbiiT2_T3_lllS6_lllT4_llli.kd
    .uniform_work_group_size: 1
    .uses_dynamic_stack: false
    .vgpr_count:     40
    .vgpr_spill_count: 0
    .wavefront_size: 32
    .workgroup_processor_mode: 1
  - .args:
      - .offset:         0
        .size:           1
        .value_kind:     by_value
      - .offset:         4
        .size:           4
        .value_kind:     by_value
      - .offset:         8
        .size:           4
        .value_kind:     by_value
      - .offset:         12
        .size:           8
        .value_kind:     by_value
      - .address_space:  global
        .offset:         24
        .size:           8
        .value_kind:     global_buffer
      - .offset:         32
        .size:           8
        .value_kind:     by_value
      - .offset:         40
        .size:           8
        .value_kind:     by_value
      - .offset:         48
        .size:           8
        .value_kind:     by_value
      - .address_space:  global
        .offset:         56
        .size:           8
        .value_kind:     global_buffer
      - .offset:         64
        .size:           8
        .value_kind:     by_value
      - .offset:         72
        .size:           8
        .value_kind:     by_value
      - .offset:         80
        .size:           8
        .value_kind:     by_value
      - .address_space:  global
        .offset:         88
        .size:           8
        .value_kind:     global_buffer
      - .offset:         96
        .size:           8
        .value_kind:     by_value
      - .offset:         104
        .size:           8
        .value_kind:     by_value
      - .offset:         112
        .size:           8
        .value_kind:     by_value
      - .offset:         120
        .size:           4
        .value_kind:     by_value
      - .offset:         128
        .size:           4
        .value_kind:     hidden_block_count_x
      - .offset:         132
        .size:           4
        .value_kind:     hidden_block_count_y
      - .offset:         136
        .size:           4
        .value_kind:     hidden_block_count_z
      - .offset:         140
        .size:           2
        .value_kind:     hidden_group_size_x
      - .offset:         142
        .size:           2
        .value_kind:     hidden_group_size_y
      - .offset:         144
        .size:           2
        .value_kind:     hidden_group_size_z
      - .offset:         146
        .size:           2
        .value_kind:     hidden_remainder_x
      - .offset:         148
        .size:           2
        .value_kind:     hidden_remainder_y
      - .offset:         150
        .size:           2
        .value_kind:     hidden_remainder_z
      - .offset:         168
        .size:           8
        .value_kind:     hidden_global_offset_x
      - .offset:         176
        .size:           8
        .value_kind:     hidden_global_offset_y
      - .offset:         184
        .size:           8
        .value_kind:     hidden_global_offset_z
      - .offset:         192
        .size:           2
        .value_kind:     hidden_grid_dims
    .group_segment_fixed_size: 16384
    .kernarg_segment_align: 8
    .kernarg_segment_size: 384
    .language:       OpenCL C
    .language_version:
      - 2
      - 0
    .max_flat_workgroup_size: 1024
    .name:           _ZL24rocblas_symm_hemm_kernelILb0ELb1ELi32E19rocblas_complex_numIfEPKS1_PS1_EvbiiT2_T3_lllS6_lllT4_llli
    .private_segment_fixed_size: 0
    .sgpr_count:     39
    .sgpr_spill_count: 0
    .symbol:         _ZL24rocblas_symm_hemm_kernelILb0ELb1ELi32E19rocblas_complex_numIfEPKS1_PS1_EvbiiT2_T3_lllS6_lllT4_llli.kd
    .uniform_work_group_size: 1
    .uses_dynamic_stack: false
    .vgpr_count:     42
    .vgpr_spill_count: 0
    .wavefront_size: 32
    .workgroup_processor_mode: 1
  - .args:
      - .offset:         0
        .size:           4
        .value_kind:     by_value
      - .offset:         4
        .size:           4
        .value_kind:     by_value
      - .address_space:  global
        .offset:         8
        .size:           8
        .value_kind:     global_buffer
      - .address_space:  global
        .offset:         16
        .size:           8
        .value_kind:     global_buffer
      - .offset:         24
        .size:           8
        .value_kind:     by_value
      - .offset:         32
        .size:           8
        .value_kind:     by_value
      - .offset:         40
        .size:           8
        .value_kind:     by_value
      - .offset:         48
        .size:           4
        .value_kind:     by_value
      - .offset:         56
        .size:           4
        .value_kind:     hidden_block_count_x
      - .offset:         60
        .size:           4
        .value_kind:     hidden_block_count_y
      - .offset:         64
        .size:           4
        .value_kind:     hidden_block_count_z
      - .offset:         68
        .size:           2
        .value_kind:     hidden_group_size_x
      - .offset:         70
        .size:           2
        .value_kind:     hidden_group_size_y
      - .offset:         72
        .size:           2
        .value_kind:     hidden_group_size_z
      - .offset:         74
        .size:           2
        .value_kind:     hidden_remainder_x
      - .offset:         76
        .size:           2
        .value_kind:     hidden_remainder_y
      - .offset:         78
        .size:           2
        .value_kind:     hidden_remainder_z
      - .offset:         96
        .size:           8
        .value_kind:     hidden_global_offset_x
      - .offset:         104
        .size:           8
        .value_kind:     hidden_global_offset_y
      - .offset:         112
        .size:           8
        .value_kind:     hidden_global_offset_z
      - .offset:         120
        .size:           2
        .value_kind:     hidden_grid_dims
    .group_segment_fixed_size: 0
    .kernarg_segment_align: 8
    .kernarg_segment_size: 312
    .language:       OpenCL C
    .language_version:
      - 2
      - 0
    .max_flat_workgroup_size: 1024
    .name:           _ZL25rocblas_symm_scale_kernelILi128ELi8EPK19rocblas_complex_numIdEPS1_EviiT1_T2_llli
    .private_segment_fixed_size: 0
    .sgpr_count:     26
    .sgpr_spill_count: 0
    .symbol:         _ZL25rocblas_symm_scale_kernelILi128ELi8EPK19rocblas_complex_numIdEPS1_EviiT1_T2_llli.kd
    .uniform_work_group_size: 1
    .uses_dynamic_stack: false
    .vgpr_count:     16
    .vgpr_spill_count: 0
    .wavefront_size: 32
    .workgroup_processor_mode: 1
  - .args:
      - .offset:         0
        .size:           1
        .value_kind:     by_value
      - .offset:         4
        .size:           4
        .value_kind:     by_value
      - .offset:         8
        .size:           4
        .value_kind:     by_value
      - .address_space:  global
        .offset:         16
        .size:           8
        .value_kind:     global_buffer
      - .address_space:  global
        .offset:         24
        .size:           8
        .value_kind:     global_buffer
      - .offset:         32
        .size:           8
        .value_kind:     by_value
      - .offset:         40
        .size:           8
        .value_kind:     by_value
      - .offset:         48
        .size:           8
        .value_kind:     by_value
      - .address_space:  global
        .offset:         56
        .size:           8
        .value_kind:     global_buffer
      - .offset:         64
        .size:           8
        .value_kind:     by_value
      - .offset:         72
        .size:           8
        .value_kind:     by_value
      - .offset:         80
        .size:           8
        .value_kind:     by_value
      - .address_space:  global
        .offset:         88
        .size:           8
        .value_kind:     global_buffer
      - .offset:         96
        .size:           8
        .value_kind:     by_value
      - .offset:         104
        .size:           8
        .value_kind:     by_value
      - .offset:         112
        .size:           8
        .value_kind:     by_value
      - .offset:         120
        .size:           4
        .value_kind:     by_value
      - .offset:         128
        .size:           4
        .value_kind:     hidden_block_count_x
      - .offset:         132
        .size:           4
        .value_kind:     hidden_block_count_y
      - .offset:         136
        .size:           4
        .value_kind:     hidden_block_count_z
      - .offset:         140
        .size:           2
        .value_kind:     hidden_group_size_x
      - .offset:         142
        .size:           2
        .value_kind:     hidden_group_size_y
      - .offset:         144
        .size:           2
        .value_kind:     hidden_group_size_z
      - .offset:         146
        .size:           2
        .value_kind:     hidden_remainder_x
      - .offset:         148
        .size:           2
        .value_kind:     hidden_remainder_y
      - .offset:         150
        .size:           2
        .value_kind:     hidden_remainder_z
      - .offset:         168
        .size:           8
        .value_kind:     hidden_global_offset_x
      - .offset:         176
        .size:           8
        .value_kind:     hidden_global_offset_y
      - .offset:         184
        .size:           8
        .value_kind:     hidden_global_offset_z
      - .offset:         192
        .size:           2
        .value_kind:     hidden_grid_dims
    .group_segment_fixed_size: 32768
    .kernarg_segment_align: 8
    .kernarg_segment_size: 384
    .language:       OpenCL C
    .language_version:
      - 2
      - 0
    .max_flat_workgroup_size: 1024
    .name:           _ZL24rocblas_symm_hemm_kernelILb0ELb0ELi32EPK19rocblas_complex_numIdES3_PS1_EvbiiT2_T3_lllS6_lllT4_llli
    .private_segment_fixed_size: 0
    .sgpr_count:     46
    .sgpr_spill_count: 0
    .symbol:         _ZL24rocblas_symm_hemm_kernelILb0ELb0ELi32EPK19rocblas_complex_numIdES3_PS1_EvbiiT2_T3_lllS6_lllT4_llli.kd
    .uniform_work_group_size: 1
    .uses_dynamic_stack: false
    .vgpr_count:     53
    .vgpr_spill_count: 0
    .wavefront_size: 32
    .workgroup_processor_mode: 1
  - .args:
      - .offset:         0
        .size:           1
        .value_kind:     by_value
      - .offset:         4
        .size:           4
        .value_kind:     by_value
      - .offset:         8
        .size:           4
        .value_kind:     by_value
      - .address_space:  global
        .offset:         16
        .size:           8
        .value_kind:     global_buffer
      - .address_space:  global
        .offset:         24
        .size:           8
        .value_kind:     global_buffer
      - .offset:         32
        .size:           8
        .value_kind:     by_value
      - .offset:         40
        .size:           8
        .value_kind:     by_value
      - .offset:         48
        .size:           8
        .value_kind:     by_value
      - .address_space:  global
        .offset:         56
        .size:           8
        .value_kind:     global_buffer
      - .offset:         64
        .size:           8
        .value_kind:     by_value
      - .offset:         72
        .size:           8
        .value_kind:     by_value
      - .offset:         80
        .size:           8
        .value_kind:     by_value
      - .address_space:  global
        .offset:         88
        .size:           8
        .value_kind:     global_buffer
      - .offset:         96
        .size:           8
        .value_kind:     by_value
      - .offset:         104
        .size:           8
        .value_kind:     by_value
      - .offset:         112
        .size:           8
        .value_kind:     by_value
      - .offset:         120
        .size:           4
        .value_kind:     by_value
      - .offset:         128
        .size:           4
        .value_kind:     hidden_block_count_x
      - .offset:         132
        .size:           4
        .value_kind:     hidden_block_count_y
      - .offset:         136
        .size:           4
        .value_kind:     hidden_block_count_z
      - .offset:         140
        .size:           2
        .value_kind:     hidden_group_size_x
      - .offset:         142
        .size:           2
        .value_kind:     hidden_group_size_y
      - .offset:         144
        .size:           2
        .value_kind:     hidden_group_size_z
      - .offset:         146
        .size:           2
        .value_kind:     hidden_remainder_x
      - .offset:         148
        .size:           2
        .value_kind:     hidden_remainder_y
      - .offset:         150
        .size:           2
        .value_kind:     hidden_remainder_z
      - .offset:         168
        .size:           8
        .value_kind:     hidden_global_offset_x
      - .offset:         176
        .size:           8
        .value_kind:     hidden_global_offset_y
      - .offset:         184
        .size:           8
        .value_kind:     hidden_global_offset_z
      - .offset:         192
        .size:           2
        .value_kind:     hidden_grid_dims
    .group_segment_fixed_size: 32768
    .kernarg_segment_align: 8
    .kernarg_segment_size: 384
    .language:       OpenCL C
    .language_version:
      - 2
      - 0
    .max_flat_workgroup_size: 1024
    .name:           _ZL24rocblas_symm_hemm_kernelILb0ELb1ELi32EPK19rocblas_complex_numIdES3_PS1_EvbiiT2_T3_lllS6_lllT4_llli
    .private_segment_fixed_size: 0
    .sgpr_count:     42
    .sgpr_spill_count: 0
    .symbol:         _ZL24rocblas_symm_hemm_kernelILb0ELb1ELi32EPK19rocblas_complex_numIdES3_PS1_EvbiiT2_T3_lllS6_lllT4_llli.kd
    .uniform_work_group_size: 1
    .uses_dynamic_stack: false
    .vgpr_count:     55
    .vgpr_spill_count: 0
    .wavefront_size: 32
    .workgroup_processor_mode: 1
  - .args:
      - .offset:         0
        .size:           4
        .value_kind:     by_value
      - .offset:         4
        .size:           4
        .value_kind:     by_value
      - .offset:         8
        .size:           16
        .value_kind:     by_value
      - .address_space:  global
        .offset:         24
        .size:           8
        .value_kind:     global_buffer
      - .offset:         32
        .size:           8
        .value_kind:     by_value
      - .offset:         40
        .size:           8
        .value_kind:     by_value
      - .offset:         48
        .size:           8
        .value_kind:     by_value
      - .offset:         56
        .size:           4
        .value_kind:     by_value
      - .offset:         64
        .size:           4
        .value_kind:     hidden_block_count_x
      - .offset:         68
        .size:           4
        .value_kind:     hidden_block_count_y
      - .offset:         72
        .size:           4
        .value_kind:     hidden_block_count_z
      - .offset:         76
        .size:           2
        .value_kind:     hidden_group_size_x
      - .offset:         78
        .size:           2
        .value_kind:     hidden_group_size_y
      - .offset:         80
        .size:           2
        .value_kind:     hidden_group_size_z
      - .offset:         82
        .size:           2
        .value_kind:     hidden_remainder_x
      - .offset:         84
        .size:           2
        .value_kind:     hidden_remainder_y
      - .offset:         86
        .size:           2
        .value_kind:     hidden_remainder_z
      - .offset:         104
        .size:           8
        .value_kind:     hidden_global_offset_x
      - .offset:         112
        .size:           8
        .value_kind:     hidden_global_offset_y
      - .offset:         120
        .size:           8
        .value_kind:     hidden_global_offset_z
      - .offset:         128
        .size:           2
        .value_kind:     hidden_grid_dims
    .group_segment_fixed_size: 0
    .kernarg_segment_align: 8
    .kernarg_segment_size: 320
    .language:       OpenCL C
    .language_version:
      - 2
      - 0
    .max_flat_workgroup_size: 1024
    .name:           _ZL25rocblas_symm_scale_kernelILi128ELi8E19rocblas_complex_numIdEPS1_EviiT1_T2_llli
    .private_segment_fixed_size: 0
    .sgpr_count:     25
    .sgpr_spill_count: 0
    .symbol:         _ZL25rocblas_symm_scale_kernelILi128ELi8E19rocblas_complex_numIdEPS1_EviiT1_T2_llli.kd
    .uniform_work_group_size: 1
    .uses_dynamic_stack: false
    .vgpr_count:     16
    .vgpr_spill_count: 0
    .wavefront_size: 32
    .workgroup_processor_mode: 1
  - .args:
      - .offset:         0
        .size:           1
        .value_kind:     by_value
      - .offset:         4
        .size:           4
        .value_kind:     by_value
      - .offset:         8
        .size:           4
        .value_kind:     by_value
      - .offset:         16
        .size:           16
        .value_kind:     by_value
      - .address_space:  global
        .offset:         32
        .size:           8
        .value_kind:     global_buffer
      - .offset:         40
        .size:           8
        .value_kind:     by_value
      - .offset:         48
        .size:           8
        .value_kind:     by_value
      - .offset:         56
        .size:           8
        .value_kind:     by_value
      - .address_space:  global
        .offset:         64
        .size:           8
        .value_kind:     global_buffer
      - .offset:         72
        .size:           8
        .value_kind:     by_value
      - .offset:         80
        .size:           8
        .value_kind:     by_value
      - .offset:         88
        .size:           8
        .value_kind:     by_value
      - .address_space:  global
        .offset:         96
        .size:           8
        .value_kind:     global_buffer
      - .offset:         104
        .size:           8
        .value_kind:     by_value
      - .offset:         112
        .size:           8
        .value_kind:     by_value
      - .offset:         120
        .size:           8
        .value_kind:     by_value
      - .offset:         128
        .size:           4
        .value_kind:     by_value
      - .offset:         136
        .size:           4
        .value_kind:     hidden_block_count_x
      - .offset:         140
        .size:           4
        .value_kind:     hidden_block_count_y
      - .offset:         144
        .size:           4
        .value_kind:     hidden_block_count_z
      - .offset:         148
        .size:           2
        .value_kind:     hidden_group_size_x
      - .offset:         150
        .size:           2
        .value_kind:     hidden_group_size_y
      - .offset:         152
        .size:           2
        .value_kind:     hidden_group_size_z
      - .offset:         154
        .size:           2
        .value_kind:     hidden_remainder_x
      - .offset:         156
        .size:           2
        .value_kind:     hidden_remainder_y
      - .offset:         158
        .size:           2
        .value_kind:     hidden_remainder_z
      - .offset:         176
        .size:           8
        .value_kind:     hidden_global_offset_x
      - .offset:         184
        .size:           8
        .value_kind:     hidden_global_offset_y
      - .offset:         192
        .size:           8
        .value_kind:     hidden_global_offset_z
      - .offset:         200
        .size:           2
        .value_kind:     hidden_grid_dims
    .group_segment_fixed_size: 32768
    .kernarg_segment_align: 8
    .kernarg_segment_size: 392
    .language:       OpenCL C
    .language_version:
      - 2
      - 0
    .max_flat_workgroup_size: 1024
    .name:           _ZL24rocblas_symm_hemm_kernelILb0ELb0ELi32E19rocblas_complex_numIdEPKS1_PS1_EvbiiT2_T3_lllS6_lllT4_llli
    .private_segment_fixed_size: 0
    .sgpr_count:     46
    .sgpr_spill_count: 0
    .symbol:         _ZL24rocblas_symm_hemm_kernelILb0ELb0ELi32E19rocblas_complex_numIdEPKS1_PS1_EvbiiT2_T3_lllS6_lllT4_llli.kd
    .uniform_work_group_size: 1
    .uses_dynamic_stack: false
    .vgpr_count:     53
    .vgpr_spill_count: 0
    .wavefront_size: 32
    .workgroup_processor_mode: 1
  - .args:
      - .offset:         0
        .size:           1
        .value_kind:     by_value
      - .offset:         4
        .size:           4
        .value_kind:     by_value
      - .offset:         8
        .size:           4
        .value_kind:     by_value
      - .offset:         16
        .size:           16
        .value_kind:     by_value
      - .address_space:  global
        .offset:         32
        .size:           8
        .value_kind:     global_buffer
      - .offset:         40
        .size:           8
        .value_kind:     by_value
      - .offset:         48
        .size:           8
        .value_kind:     by_value
      - .offset:         56
        .size:           8
        .value_kind:     by_value
      - .address_space:  global
        .offset:         64
        .size:           8
        .value_kind:     global_buffer
      - .offset:         72
        .size:           8
        .value_kind:     by_value
      - .offset:         80
        .size:           8
        .value_kind:     by_value
      - .offset:         88
        .size:           8
        .value_kind:     by_value
      - .address_space:  global
        .offset:         96
        .size:           8
        .value_kind:     global_buffer
      - .offset:         104
        .size:           8
        .value_kind:     by_value
      - .offset:         112
        .size:           8
        .value_kind:     by_value
      - .offset:         120
        .size:           8
        .value_kind:     by_value
      - .offset:         128
        .size:           4
        .value_kind:     by_value
      - .offset:         136
        .size:           4
        .value_kind:     hidden_block_count_x
      - .offset:         140
        .size:           4
        .value_kind:     hidden_block_count_y
      - .offset:         144
        .size:           4
        .value_kind:     hidden_block_count_z
      - .offset:         148
        .size:           2
        .value_kind:     hidden_group_size_x
      - .offset:         150
        .size:           2
        .value_kind:     hidden_group_size_y
      - .offset:         152
        .size:           2
        .value_kind:     hidden_group_size_z
      - .offset:         154
        .size:           2
        .value_kind:     hidden_remainder_x
      - .offset:         156
        .size:           2
        .value_kind:     hidden_remainder_y
      - .offset:         158
        .size:           2
        .value_kind:     hidden_remainder_z
      - .offset:         176
        .size:           8
        .value_kind:     hidden_global_offset_x
      - .offset:         184
        .size:           8
        .value_kind:     hidden_global_offset_y
      - .offset:         192
        .size:           8
        .value_kind:     hidden_global_offset_z
      - .offset:         200
        .size:           2
        .value_kind:     hidden_grid_dims
    .group_segment_fixed_size: 32768
    .kernarg_segment_align: 8
    .kernarg_segment_size: 392
    .language:       OpenCL C
    .language_version:
      - 2
      - 0
    .max_flat_workgroup_size: 1024
    .name:           _ZL24rocblas_symm_hemm_kernelILb0ELb1ELi32E19rocblas_complex_numIdEPKS1_PS1_EvbiiT2_T3_lllS6_lllT4_llli
    .private_segment_fixed_size: 0
    .sgpr_count:     41
    .sgpr_spill_count: 0
    .symbol:         _ZL24rocblas_symm_hemm_kernelILb0ELb1ELi32E19rocblas_complex_numIdEPKS1_PS1_EvbiiT2_T3_lllS6_lllT4_llli.kd
    .uniform_work_group_size: 1
    .uses_dynamic_stack: false
    .vgpr_count:     55
    .vgpr_spill_count: 0
    .wavefront_size: 32
    .workgroup_processor_mode: 1
  - .args:
      - .offset:         0
        .size:           1
        .value_kind:     by_value
      - .offset:         4
        .size:           4
        .value_kind:     by_value
      - .offset:         8
        .size:           4
        .value_kind:     by_value
      - .address_space:  global
        .offset:         16
        .size:           8
        .value_kind:     global_buffer
      - .address_space:  global
        .offset:         24
        .size:           8
        .value_kind:     global_buffer
      - .offset:         32
        .size:           8
        .value_kind:     by_value
      - .offset:         40
        .size:           8
        .value_kind:     by_value
      - .offset:         48
        .size:           8
        .value_kind:     by_value
      - .address_space:  global
        .offset:         56
        .size:           8
        .value_kind:     global_buffer
      - .offset:         64
        .size:           8
        .value_kind:     by_value
      - .offset:         72
        .size:           8
        .value_kind:     by_value
      - .offset:         80
        .size:           8
        .value_kind:     by_value
      - .address_space:  global
        .offset:         88
        .size:           8
        .value_kind:     global_buffer
      - .offset:         96
        .size:           8
        .value_kind:     by_value
      - .offset:         104
        .size:           8
        .value_kind:     by_value
      - .offset:         112
        .size:           8
        .value_kind:     by_value
      - .offset:         120
        .size:           4
        .value_kind:     by_value
      - .offset:         128
        .size:           4
        .value_kind:     hidden_block_count_x
      - .offset:         132
        .size:           4
        .value_kind:     hidden_block_count_y
      - .offset:         136
        .size:           4
        .value_kind:     hidden_block_count_z
      - .offset:         140
        .size:           2
        .value_kind:     hidden_group_size_x
      - .offset:         142
        .size:           2
        .value_kind:     hidden_group_size_y
      - .offset:         144
        .size:           2
        .value_kind:     hidden_group_size_z
      - .offset:         146
        .size:           2
        .value_kind:     hidden_remainder_x
      - .offset:         148
        .size:           2
        .value_kind:     hidden_remainder_y
      - .offset:         150
        .size:           2
        .value_kind:     hidden_remainder_z
      - .offset:         168
        .size:           8
        .value_kind:     hidden_global_offset_x
      - .offset:         176
        .size:           8
        .value_kind:     hidden_global_offset_y
      - .offset:         184
        .size:           8
        .value_kind:     hidden_global_offset_z
      - .offset:         192
        .size:           2
        .value_kind:     hidden_grid_dims
    .group_segment_fixed_size: 16384
    .kernarg_segment_align: 8
    .kernarg_segment_size: 384
    .language:       OpenCL C
    .language_version:
      - 2
      - 0
    .max_flat_workgroup_size: 1024
    .name:           _ZL24rocblas_symm_hemm_kernelILb1ELb0ELi32EPK19rocblas_complex_numIfES3_PS1_EvbiiT2_T3_lllS6_lllT4_llli
    .private_segment_fixed_size: 0
    .sgpr_count:     44
    .sgpr_spill_count: 0
    .symbol:         _ZL24rocblas_symm_hemm_kernelILb1ELb0ELi32EPK19rocblas_complex_numIfES3_PS1_EvbiiT2_T3_lllS6_lllT4_llli.kd
    .uniform_work_group_size: 1
    .uses_dynamic_stack: false
    .vgpr_count:     144
    .vgpr_spill_count: 0
    .wavefront_size: 32
    .workgroup_processor_mode: 1
  - .args:
      - .offset:         0
        .size:           1
        .value_kind:     by_value
      - .offset:         4
        .size:           4
        .value_kind:     by_value
      - .offset:         8
        .size:           4
        .value_kind:     by_value
      - .address_space:  global
        .offset:         16
        .size:           8
        .value_kind:     global_buffer
      - .address_space:  global
        .offset:         24
        .size:           8
        .value_kind:     global_buffer
      - .offset:         32
        .size:           8
        .value_kind:     by_value
      - .offset:         40
        .size:           8
        .value_kind:     by_value
      - .offset:         48
        .size:           8
        .value_kind:     by_value
      - .address_space:  global
        .offset:         56
        .size:           8
        .value_kind:     global_buffer
      - .offset:         64
        .size:           8
        .value_kind:     by_value
      - .offset:         72
        .size:           8
        .value_kind:     by_value
      - .offset:         80
        .size:           8
        .value_kind:     by_value
      - .address_space:  global
        .offset:         88
        .size:           8
        .value_kind:     global_buffer
      - .offset:         96
        .size:           8
        .value_kind:     by_value
      - .offset:         104
        .size:           8
        .value_kind:     by_value
      - .offset:         112
        .size:           8
        .value_kind:     by_value
      - .offset:         120
        .size:           4
        .value_kind:     by_value
      - .offset:         128
        .size:           4
        .value_kind:     hidden_block_count_x
      - .offset:         132
        .size:           4
        .value_kind:     hidden_block_count_y
      - .offset:         136
        .size:           4
        .value_kind:     hidden_block_count_z
      - .offset:         140
        .size:           2
        .value_kind:     hidden_group_size_x
      - .offset:         142
        .size:           2
        .value_kind:     hidden_group_size_y
      - .offset:         144
        .size:           2
        .value_kind:     hidden_group_size_z
      - .offset:         146
        .size:           2
        .value_kind:     hidden_remainder_x
      - .offset:         148
        .size:           2
        .value_kind:     hidden_remainder_y
      - .offset:         150
        .size:           2
        .value_kind:     hidden_remainder_z
      - .offset:         168
        .size:           8
        .value_kind:     hidden_global_offset_x
      - .offset:         176
        .size:           8
        .value_kind:     hidden_global_offset_y
      - .offset:         184
        .size:           8
        .value_kind:     hidden_global_offset_z
      - .offset:         192
        .size:           2
        .value_kind:     hidden_grid_dims
    .group_segment_fixed_size: 16384
    .kernarg_segment_align: 8
    .kernarg_segment_size: 384
    .language:       OpenCL C
    .language_version:
      - 2
      - 0
    .max_flat_workgroup_size: 1024
    .name:           _ZL24rocblas_symm_hemm_kernelILb1ELb1ELi32EPK19rocblas_complex_numIfES3_PS1_EvbiiT2_T3_lllS6_lllT4_llli
    .private_segment_fixed_size: 0
    .sgpr_count:     41
    .sgpr_spill_count: 0
    .symbol:         _ZL24rocblas_symm_hemm_kernelILb1ELb1ELi32EPK19rocblas_complex_numIfES3_PS1_EvbiiT2_T3_lllS6_lllT4_llli.kd
    .uniform_work_group_size: 1
    .uses_dynamic_stack: false
    .vgpr_count:     145
    .vgpr_spill_count: 0
    .wavefront_size: 32
    .workgroup_processor_mode: 1
  - .args:
      - .offset:         0
        .size:           1
        .value_kind:     by_value
      - .offset:         4
        .size:           4
        .value_kind:     by_value
      - .offset:         8
        .size:           4
        .value_kind:     by_value
      - .offset:         12
        .size:           8
        .value_kind:     by_value
      - .address_space:  global
        .offset:         24
        .size:           8
        .value_kind:     global_buffer
      - .offset:         32
        .size:           8
        .value_kind:     by_value
      - .offset:         40
        .size:           8
        .value_kind:     by_value
      - .offset:         48
        .size:           8
        .value_kind:     by_value
      - .address_space:  global
        .offset:         56
        .size:           8
        .value_kind:     global_buffer
      - .offset:         64
        .size:           8
        .value_kind:     by_value
      - .offset:         72
        .size:           8
        .value_kind:     by_value
      - .offset:         80
        .size:           8
        .value_kind:     by_value
      - .address_space:  global
        .offset:         88
        .size:           8
        .value_kind:     global_buffer
      - .offset:         96
        .size:           8
        .value_kind:     by_value
      - .offset:         104
        .size:           8
        .value_kind:     by_value
      - .offset:         112
        .size:           8
        .value_kind:     by_value
      - .offset:         120
        .size:           4
        .value_kind:     by_value
      - .offset:         128
        .size:           4
        .value_kind:     hidden_block_count_x
      - .offset:         132
        .size:           4
        .value_kind:     hidden_block_count_y
      - .offset:         136
        .size:           4
        .value_kind:     hidden_block_count_z
      - .offset:         140
        .size:           2
        .value_kind:     hidden_group_size_x
      - .offset:         142
        .size:           2
        .value_kind:     hidden_group_size_y
      - .offset:         144
        .size:           2
        .value_kind:     hidden_group_size_z
      - .offset:         146
        .size:           2
        .value_kind:     hidden_remainder_x
      - .offset:         148
        .size:           2
        .value_kind:     hidden_remainder_y
      - .offset:         150
        .size:           2
        .value_kind:     hidden_remainder_z
      - .offset:         168
        .size:           8
        .value_kind:     hidden_global_offset_x
      - .offset:         176
        .size:           8
        .value_kind:     hidden_global_offset_y
      - .offset:         184
        .size:           8
        .value_kind:     hidden_global_offset_z
      - .offset:         192
        .size:           2
        .value_kind:     hidden_grid_dims
    .group_segment_fixed_size: 16384
    .kernarg_segment_align: 8
    .kernarg_segment_size: 384
    .language:       OpenCL C
    .language_version:
      - 2
      - 0
    .max_flat_workgroup_size: 1024
    .name:           _ZL24rocblas_symm_hemm_kernelILb1ELb0ELi32E19rocblas_complex_numIfEPKS1_PS1_EvbiiT2_T3_lllS6_lllT4_llli
    .private_segment_fixed_size: 0
    .sgpr_count:     44
    .sgpr_spill_count: 0
    .symbol:         _ZL24rocblas_symm_hemm_kernelILb1ELb0ELi32E19rocblas_complex_numIfEPKS1_PS1_EvbiiT2_T3_lllS6_lllT4_llli.kd
    .uniform_work_group_size: 1
    .uses_dynamic_stack: false
    .vgpr_count:     50
    .vgpr_spill_count: 0
    .wavefront_size: 32
    .workgroup_processor_mode: 1
  - .args:
      - .offset:         0
        .size:           1
        .value_kind:     by_value
      - .offset:         4
        .size:           4
        .value_kind:     by_value
      - .offset:         8
        .size:           4
        .value_kind:     by_value
      - .offset:         12
        .size:           8
        .value_kind:     by_value
      - .address_space:  global
        .offset:         24
        .size:           8
        .value_kind:     global_buffer
      - .offset:         32
        .size:           8
        .value_kind:     by_value
      - .offset:         40
        .size:           8
        .value_kind:     by_value
      - .offset:         48
        .size:           8
        .value_kind:     by_value
      - .address_space:  global
        .offset:         56
        .size:           8
        .value_kind:     global_buffer
      - .offset:         64
        .size:           8
        .value_kind:     by_value
      - .offset:         72
        .size:           8
        .value_kind:     by_value
      - .offset:         80
        .size:           8
        .value_kind:     by_value
      - .address_space:  global
        .offset:         88
        .size:           8
        .value_kind:     global_buffer
      - .offset:         96
        .size:           8
        .value_kind:     by_value
      - .offset:         104
        .size:           8
        .value_kind:     by_value
      - .offset:         112
        .size:           8
        .value_kind:     by_value
      - .offset:         120
        .size:           4
        .value_kind:     by_value
      - .offset:         128
        .size:           4
        .value_kind:     hidden_block_count_x
      - .offset:         132
        .size:           4
        .value_kind:     hidden_block_count_y
      - .offset:         136
        .size:           4
        .value_kind:     hidden_block_count_z
      - .offset:         140
        .size:           2
        .value_kind:     hidden_group_size_x
      - .offset:         142
        .size:           2
        .value_kind:     hidden_group_size_y
      - .offset:         144
        .size:           2
        .value_kind:     hidden_group_size_z
      - .offset:         146
        .size:           2
        .value_kind:     hidden_remainder_x
      - .offset:         148
        .size:           2
        .value_kind:     hidden_remainder_y
      - .offset:         150
        .size:           2
        .value_kind:     hidden_remainder_z
      - .offset:         168
        .size:           8
        .value_kind:     hidden_global_offset_x
      - .offset:         176
        .size:           8
        .value_kind:     hidden_global_offset_y
      - .offset:         184
        .size:           8
        .value_kind:     hidden_global_offset_z
      - .offset:         192
        .size:           2
        .value_kind:     hidden_grid_dims
    .group_segment_fixed_size: 16384
    .kernarg_segment_align: 8
    .kernarg_segment_size: 384
    .language:       OpenCL C
    .language_version:
      - 2
      - 0
    .max_flat_workgroup_size: 1024
    .name:           _ZL24rocblas_symm_hemm_kernelILb1ELb1ELi32E19rocblas_complex_numIfEPKS1_PS1_EvbiiT2_T3_lllS6_lllT4_llli
    .private_segment_fixed_size: 0
    .sgpr_count:     41
    .sgpr_spill_count: 0
    .symbol:         _ZL24rocblas_symm_hemm_kernelILb1ELb1ELi32E19rocblas_complex_numIfEPKS1_PS1_EvbiiT2_T3_lllS6_lllT4_llli.kd
    .uniform_work_group_size: 1
    .uses_dynamic_stack: false
    .vgpr_count:     50
    .vgpr_spill_count: 0
    .wavefront_size: 32
    .workgroup_processor_mode: 1
  - .args:
      - .offset:         0
        .size:           1
        .value_kind:     by_value
      - .offset:         4
        .size:           4
        .value_kind:     by_value
      - .offset:         8
        .size:           4
        .value_kind:     by_value
      - .address_space:  global
        .offset:         16
        .size:           8
        .value_kind:     global_buffer
      - .address_space:  global
        .offset:         24
        .size:           8
        .value_kind:     global_buffer
      - .offset:         32
        .size:           8
        .value_kind:     by_value
      - .offset:         40
        .size:           8
        .value_kind:     by_value
      - .offset:         48
        .size:           8
        .value_kind:     by_value
      - .address_space:  global
        .offset:         56
        .size:           8
        .value_kind:     global_buffer
      - .offset:         64
        .size:           8
        .value_kind:     by_value
      - .offset:         72
        .size:           8
        .value_kind:     by_value
      - .offset:         80
        .size:           8
        .value_kind:     by_value
      - .address_space:  global
        .offset:         88
        .size:           8
        .value_kind:     global_buffer
      - .offset:         96
        .size:           8
        .value_kind:     by_value
      - .offset:         104
        .size:           8
        .value_kind:     by_value
      - .offset:         112
        .size:           8
        .value_kind:     by_value
      - .offset:         120
        .size:           4
        .value_kind:     by_value
      - .offset:         128
        .size:           4
        .value_kind:     hidden_block_count_x
      - .offset:         132
        .size:           4
        .value_kind:     hidden_block_count_y
      - .offset:         136
        .size:           4
        .value_kind:     hidden_block_count_z
      - .offset:         140
        .size:           2
        .value_kind:     hidden_group_size_x
      - .offset:         142
        .size:           2
        .value_kind:     hidden_group_size_y
      - .offset:         144
        .size:           2
        .value_kind:     hidden_group_size_z
      - .offset:         146
        .size:           2
        .value_kind:     hidden_remainder_x
      - .offset:         148
        .size:           2
        .value_kind:     hidden_remainder_y
      - .offset:         150
        .size:           2
        .value_kind:     hidden_remainder_z
      - .offset:         168
        .size:           8
        .value_kind:     hidden_global_offset_x
      - .offset:         176
        .size:           8
        .value_kind:     hidden_global_offset_y
      - .offset:         184
        .size:           8
        .value_kind:     hidden_global_offset_z
      - .offset:         192
        .size:           2
        .value_kind:     hidden_grid_dims
    .group_segment_fixed_size: 32768
    .kernarg_segment_align: 8
    .kernarg_segment_size: 384
    .language:       OpenCL C
    .language_version:
      - 2
      - 0
    .max_flat_workgroup_size: 1024
    .name:           _ZL24rocblas_symm_hemm_kernelILb1ELb0ELi32EPK19rocblas_complex_numIdES3_PS1_EvbiiT2_T3_lllS6_lllT4_llli
    .private_segment_fixed_size: 0
    .sgpr_count:     46
    .sgpr_spill_count: 0
    .symbol:         _ZL24rocblas_symm_hemm_kernelILb1ELb0ELi32EPK19rocblas_complex_numIdES3_PS1_EvbiiT2_T3_lllS6_lllT4_llli.kd
    .uniform_work_group_size: 1
    .uses_dynamic_stack: false
    .vgpr_count:     63
    .vgpr_spill_count: 0
    .wavefront_size: 32
    .workgroup_processor_mode: 1
  - .args:
      - .offset:         0
        .size:           1
        .value_kind:     by_value
      - .offset:         4
        .size:           4
        .value_kind:     by_value
      - .offset:         8
        .size:           4
        .value_kind:     by_value
      - .address_space:  global
        .offset:         16
        .size:           8
        .value_kind:     global_buffer
      - .address_space:  global
        .offset:         24
        .size:           8
        .value_kind:     global_buffer
      - .offset:         32
        .size:           8
        .value_kind:     by_value
      - .offset:         40
        .size:           8
        .value_kind:     by_value
      - .offset:         48
        .size:           8
        .value_kind:     by_value
      - .address_space:  global
        .offset:         56
        .size:           8
        .value_kind:     global_buffer
      - .offset:         64
        .size:           8
        .value_kind:     by_value
      - .offset:         72
        .size:           8
        .value_kind:     by_value
      - .offset:         80
        .size:           8
        .value_kind:     by_value
      - .address_space:  global
        .offset:         88
        .size:           8
        .value_kind:     global_buffer
      - .offset:         96
        .size:           8
        .value_kind:     by_value
      - .offset:         104
        .size:           8
        .value_kind:     by_value
      - .offset:         112
        .size:           8
        .value_kind:     by_value
      - .offset:         120
        .size:           4
        .value_kind:     by_value
      - .offset:         128
        .size:           4
        .value_kind:     hidden_block_count_x
      - .offset:         132
        .size:           4
        .value_kind:     hidden_block_count_y
      - .offset:         136
        .size:           4
        .value_kind:     hidden_block_count_z
      - .offset:         140
        .size:           2
        .value_kind:     hidden_group_size_x
      - .offset:         142
        .size:           2
        .value_kind:     hidden_group_size_y
      - .offset:         144
        .size:           2
        .value_kind:     hidden_group_size_z
      - .offset:         146
        .size:           2
        .value_kind:     hidden_remainder_x
      - .offset:         148
        .size:           2
        .value_kind:     hidden_remainder_y
      - .offset:         150
        .size:           2
        .value_kind:     hidden_remainder_z
      - .offset:         168
        .size:           8
        .value_kind:     hidden_global_offset_x
      - .offset:         176
        .size:           8
        .value_kind:     hidden_global_offset_y
      - .offset:         184
        .size:           8
        .value_kind:     hidden_global_offset_z
      - .offset:         192
        .size:           2
        .value_kind:     hidden_grid_dims
    .group_segment_fixed_size: 32768
    .kernarg_segment_align: 8
    .kernarg_segment_size: 384
    .language:       OpenCL C
    .language_version:
      - 2
      - 0
    .max_flat_workgroup_size: 1024
    .name:           _ZL24rocblas_symm_hemm_kernelILb1ELb1ELi32EPK19rocblas_complex_numIdES3_PS1_EvbiiT2_T3_lllS6_lllT4_llli
    .private_segment_fixed_size: 0
    .sgpr_count:     42
    .sgpr_spill_count: 0
    .symbol:         _ZL24rocblas_symm_hemm_kernelILb1ELb1ELi32EPK19rocblas_complex_numIdES3_PS1_EvbiiT2_T3_lllS6_lllT4_llli.kd
    .uniform_work_group_size: 1
    .uses_dynamic_stack: false
    .vgpr_count:     61
    .vgpr_spill_count: 0
    .wavefront_size: 32
    .workgroup_processor_mode: 1
  - .args:
      - .offset:         0
        .size:           1
        .value_kind:     by_value
      - .offset:         4
        .size:           4
        .value_kind:     by_value
      - .offset:         8
        .size:           4
        .value_kind:     by_value
      - .offset:         16
        .size:           16
        .value_kind:     by_value
      - .address_space:  global
        .offset:         32
        .size:           8
        .value_kind:     global_buffer
      - .offset:         40
        .size:           8
        .value_kind:     by_value
      - .offset:         48
        .size:           8
        .value_kind:     by_value
      - .offset:         56
        .size:           8
        .value_kind:     by_value
      - .address_space:  global
        .offset:         64
        .size:           8
        .value_kind:     global_buffer
      - .offset:         72
        .size:           8
        .value_kind:     by_value
      - .offset:         80
        .size:           8
        .value_kind:     by_value
      - .offset:         88
        .size:           8
        .value_kind:     by_value
      - .address_space:  global
        .offset:         96
        .size:           8
        .value_kind:     global_buffer
      - .offset:         104
        .size:           8
        .value_kind:     by_value
      - .offset:         112
        .size:           8
        .value_kind:     by_value
      - .offset:         120
        .size:           8
        .value_kind:     by_value
      - .offset:         128
        .size:           4
        .value_kind:     by_value
      - .offset:         136
        .size:           4
        .value_kind:     hidden_block_count_x
      - .offset:         140
        .size:           4
        .value_kind:     hidden_block_count_y
      - .offset:         144
        .size:           4
        .value_kind:     hidden_block_count_z
      - .offset:         148
        .size:           2
        .value_kind:     hidden_group_size_x
      - .offset:         150
        .size:           2
        .value_kind:     hidden_group_size_y
      - .offset:         152
        .size:           2
        .value_kind:     hidden_group_size_z
      - .offset:         154
        .size:           2
        .value_kind:     hidden_remainder_x
      - .offset:         156
        .size:           2
        .value_kind:     hidden_remainder_y
      - .offset:         158
        .size:           2
        .value_kind:     hidden_remainder_z
      - .offset:         176
        .size:           8
        .value_kind:     hidden_global_offset_x
      - .offset:         184
        .size:           8
        .value_kind:     hidden_global_offset_y
      - .offset:         192
        .size:           8
        .value_kind:     hidden_global_offset_z
      - .offset:         200
        .size:           2
        .value_kind:     hidden_grid_dims
    .group_segment_fixed_size: 32768
    .kernarg_segment_align: 8
    .kernarg_segment_size: 392
    .language:       OpenCL C
    .language_version:
      - 2
      - 0
    .max_flat_workgroup_size: 1024
    .name:           _ZL24rocblas_symm_hemm_kernelILb1ELb0ELi32E19rocblas_complex_numIdEPKS1_PS1_EvbiiT2_T3_lllS6_lllT4_llli
    .private_segment_fixed_size: 0
    .sgpr_count:     46
    .sgpr_spill_count: 0
    .symbol:         _ZL24rocblas_symm_hemm_kernelILb1ELb0ELi32E19rocblas_complex_numIdEPKS1_PS1_EvbiiT2_T3_lllS6_lllT4_llli.kd
    .uniform_work_group_size: 1
    .uses_dynamic_stack: false
    .vgpr_count:     63
    .vgpr_spill_count: 0
    .wavefront_size: 32
    .workgroup_processor_mode: 1
  - .args:
      - .offset:         0
        .size:           1
        .value_kind:     by_value
      - .offset:         4
        .size:           4
        .value_kind:     by_value
      - .offset:         8
        .size:           4
        .value_kind:     by_value
      - .offset:         16
        .size:           16
        .value_kind:     by_value
      - .address_space:  global
        .offset:         32
        .size:           8
        .value_kind:     global_buffer
      - .offset:         40
        .size:           8
        .value_kind:     by_value
      - .offset:         48
        .size:           8
        .value_kind:     by_value
      - .offset:         56
        .size:           8
        .value_kind:     by_value
      - .address_space:  global
        .offset:         64
        .size:           8
        .value_kind:     global_buffer
      - .offset:         72
        .size:           8
        .value_kind:     by_value
      - .offset:         80
        .size:           8
        .value_kind:     by_value
      - .offset:         88
        .size:           8
        .value_kind:     by_value
      - .address_space:  global
        .offset:         96
        .size:           8
        .value_kind:     global_buffer
      - .offset:         104
        .size:           8
        .value_kind:     by_value
      - .offset:         112
        .size:           8
        .value_kind:     by_value
      - .offset:         120
        .size:           8
        .value_kind:     by_value
      - .offset:         128
        .size:           4
        .value_kind:     by_value
      - .offset:         136
        .size:           4
        .value_kind:     hidden_block_count_x
      - .offset:         140
        .size:           4
        .value_kind:     hidden_block_count_y
      - .offset:         144
        .size:           4
        .value_kind:     hidden_block_count_z
      - .offset:         148
        .size:           2
        .value_kind:     hidden_group_size_x
      - .offset:         150
        .size:           2
        .value_kind:     hidden_group_size_y
      - .offset:         152
        .size:           2
        .value_kind:     hidden_group_size_z
      - .offset:         154
        .size:           2
        .value_kind:     hidden_remainder_x
      - .offset:         156
        .size:           2
        .value_kind:     hidden_remainder_y
      - .offset:         158
        .size:           2
        .value_kind:     hidden_remainder_z
      - .offset:         176
        .size:           8
        .value_kind:     hidden_global_offset_x
      - .offset:         184
        .size:           8
        .value_kind:     hidden_global_offset_y
      - .offset:         192
        .size:           8
        .value_kind:     hidden_global_offset_z
      - .offset:         200
        .size:           2
        .value_kind:     hidden_grid_dims
    .group_segment_fixed_size: 32768
    .kernarg_segment_align: 8
    .kernarg_segment_size: 392
    .language:       OpenCL C
    .language_version:
      - 2
      - 0
    .max_flat_workgroup_size: 1024
    .name:           _ZL24rocblas_symm_hemm_kernelILb1ELb1ELi32E19rocblas_complex_numIdEPKS1_PS1_EvbiiT2_T3_lllS6_lllT4_llli
    .private_segment_fixed_size: 0
    .sgpr_count:     42
    .sgpr_spill_count: 0
    .symbol:         _ZL24rocblas_symm_hemm_kernelILb1ELb1ELi32E19rocblas_complex_numIdEPKS1_PS1_EvbiiT2_T3_lllS6_lllT4_llli.kd
    .uniform_work_group_size: 1
    .uses_dynamic_stack: false
    .vgpr_count:     61
    .vgpr_spill_count: 0
    .wavefront_size: 32
    .workgroup_processor_mode: 1
  - .args:
      - .offset:         0
        .size:           4
        .value_kind:     by_value
      - .offset:         4
        .size:           4
        .value_kind:     by_value
      - .address_space:  global
        .offset:         8
        .size:           8
        .value_kind:     global_buffer
      - .address_space:  global
        .offset:         16
        .size:           8
        .value_kind:     global_buffer
      - .offset:         24
        .size:           8
        .value_kind:     by_value
      - .offset:         32
        .size:           8
        .value_kind:     by_value
      - .offset:         40
        .size:           8
        .value_kind:     by_value
      - .offset:         48
        .size:           4
        .value_kind:     by_value
      - .offset:         56
        .size:           4
        .value_kind:     hidden_block_count_x
      - .offset:         60
        .size:           4
        .value_kind:     hidden_block_count_y
      - .offset:         64
        .size:           4
        .value_kind:     hidden_block_count_z
      - .offset:         68
        .size:           2
        .value_kind:     hidden_group_size_x
      - .offset:         70
        .size:           2
        .value_kind:     hidden_group_size_y
      - .offset:         72
        .size:           2
        .value_kind:     hidden_group_size_z
      - .offset:         74
        .size:           2
        .value_kind:     hidden_remainder_x
      - .offset:         76
        .size:           2
        .value_kind:     hidden_remainder_y
      - .offset:         78
        .size:           2
        .value_kind:     hidden_remainder_z
      - .offset:         96
        .size:           8
        .value_kind:     hidden_global_offset_x
      - .offset:         104
        .size:           8
        .value_kind:     hidden_global_offset_y
      - .offset:         112
        .size:           8
        .value_kind:     hidden_global_offset_z
      - .offset:         120
        .size:           2
        .value_kind:     hidden_grid_dims
    .group_segment_fixed_size: 0
    .kernarg_segment_align: 8
    .kernarg_segment_size: 312
    .language:       OpenCL C
    .language_version:
      - 2
      - 0
    .max_flat_workgroup_size: 1024
    .name:           _ZL25rocblas_symm_scale_kernelILi128ELi8EPKfPKPfEviiT1_T2_llli
    .private_segment_fixed_size: 0
    .sgpr_count:     22
    .sgpr_spill_count: 0
    .symbol:         _ZL25rocblas_symm_scale_kernelILi128ELi8EPKfPKPfEviiT1_T2_llli.kd
    .uniform_work_group_size: 1
    .uses_dynamic_stack: false
    .vgpr_count:     9
    .vgpr_spill_count: 0
    .wavefront_size: 32
    .workgroup_processor_mode: 1
  - .args:
      - .offset:         0
        .size:           1
        .value_kind:     by_value
      - .offset:         4
        .size:           4
        .value_kind:     by_value
      - .offset:         8
        .size:           4
        .value_kind:     by_value
      - .address_space:  global
        .offset:         16
        .size:           8
        .value_kind:     global_buffer
      - .address_space:  global
        .offset:         24
        .size:           8
        .value_kind:     global_buffer
      - .offset:         32
        .size:           8
        .value_kind:     by_value
      - .offset:         40
        .size:           8
        .value_kind:     by_value
      - .offset:         48
        .size:           8
        .value_kind:     by_value
      - .address_space:  global
        .offset:         56
        .size:           8
        .value_kind:     global_buffer
      - .offset:         64
        .size:           8
        .value_kind:     by_value
      - .offset:         72
        .size:           8
        .value_kind:     by_value
      - .offset:         80
        .size:           8
        .value_kind:     by_value
      - .address_space:  global
        .offset:         88
        .size:           8
        .value_kind:     global_buffer
      - .offset:         96
        .size:           8
        .value_kind:     by_value
      - .offset:         104
        .size:           8
        .value_kind:     by_value
      - .offset:         112
        .size:           8
        .value_kind:     by_value
      - .offset:         120
        .size:           4
        .value_kind:     by_value
      - .offset:         128
        .size:           4
        .value_kind:     hidden_block_count_x
      - .offset:         132
        .size:           4
        .value_kind:     hidden_block_count_y
      - .offset:         136
        .size:           4
        .value_kind:     hidden_block_count_z
      - .offset:         140
        .size:           2
        .value_kind:     hidden_group_size_x
      - .offset:         142
        .size:           2
        .value_kind:     hidden_group_size_y
      - .offset:         144
        .size:           2
        .value_kind:     hidden_group_size_z
      - .offset:         146
        .size:           2
        .value_kind:     hidden_remainder_x
      - .offset:         148
        .size:           2
        .value_kind:     hidden_remainder_y
      - .offset:         150
        .size:           2
        .value_kind:     hidden_remainder_z
      - .offset:         168
        .size:           8
        .value_kind:     hidden_global_offset_x
      - .offset:         176
        .size:           8
        .value_kind:     hidden_global_offset_y
      - .offset:         184
        .size:           8
        .value_kind:     hidden_global_offset_z
      - .offset:         192
        .size:           2
        .value_kind:     hidden_grid_dims
    .group_segment_fixed_size: 8192
    .kernarg_segment_align: 8
    .kernarg_segment_size: 384
    .language:       OpenCL C
    .language_version:
      - 2
      - 0
    .max_flat_workgroup_size: 1024
    .name:           _ZL24rocblas_symm_hemm_kernelILb0ELb0ELi32EPKfPKS1_PKPfEvbiiT2_T3_lllS8_lllT4_llli
    .private_segment_fixed_size: 0
    .sgpr_count:     46
    .sgpr_spill_count: 0
    .symbol:         _ZL24rocblas_symm_hemm_kernelILb0ELb0ELi32EPKfPKS1_PKPfEvbiiT2_T3_lllS8_lllT4_llli.kd
    .uniform_work_group_size: 1
    .uses_dynamic_stack: false
    .vgpr_count:     34
    .vgpr_spill_count: 0
    .wavefront_size: 32
    .workgroup_processor_mode: 1
  - .args:
      - .offset:         0
        .size:           1
        .value_kind:     by_value
      - .offset:         4
        .size:           4
        .value_kind:     by_value
      - .offset:         8
        .size:           4
        .value_kind:     by_value
      - .address_space:  global
        .offset:         16
        .size:           8
        .value_kind:     global_buffer
      - .address_space:  global
        .offset:         24
        .size:           8
        .value_kind:     global_buffer
      - .offset:         32
        .size:           8
        .value_kind:     by_value
      - .offset:         40
        .size:           8
        .value_kind:     by_value
      - .offset:         48
        .size:           8
        .value_kind:     by_value
      - .address_space:  global
        .offset:         56
        .size:           8
        .value_kind:     global_buffer
      - .offset:         64
        .size:           8
        .value_kind:     by_value
      - .offset:         72
        .size:           8
        .value_kind:     by_value
      - .offset:         80
        .size:           8
        .value_kind:     by_value
      - .address_space:  global
        .offset:         88
        .size:           8
        .value_kind:     global_buffer
      - .offset:         96
        .size:           8
        .value_kind:     by_value
      - .offset:         104
        .size:           8
        .value_kind:     by_value
      - .offset:         112
        .size:           8
        .value_kind:     by_value
      - .offset:         120
        .size:           4
        .value_kind:     by_value
      - .offset:         128
        .size:           4
        .value_kind:     hidden_block_count_x
      - .offset:         132
        .size:           4
        .value_kind:     hidden_block_count_y
      - .offset:         136
        .size:           4
        .value_kind:     hidden_block_count_z
      - .offset:         140
        .size:           2
        .value_kind:     hidden_group_size_x
      - .offset:         142
        .size:           2
        .value_kind:     hidden_group_size_y
      - .offset:         144
        .size:           2
        .value_kind:     hidden_group_size_z
      - .offset:         146
        .size:           2
        .value_kind:     hidden_remainder_x
      - .offset:         148
        .size:           2
        .value_kind:     hidden_remainder_y
      - .offset:         150
        .size:           2
        .value_kind:     hidden_remainder_z
      - .offset:         168
        .size:           8
        .value_kind:     hidden_global_offset_x
      - .offset:         176
        .size:           8
        .value_kind:     hidden_global_offset_y
      - .offset:         184
        .size:           8
        .value_kind:     hidden_global_offset_z
      - .offset:         192
        .size:           2
        .value_kind:     hidden_grid_dims
    .group_segment_fixed_size: 8192
    .kernarg_segment_align: 8
    .kernarg_segment_size: 384
    .language:       OpenCL C
    .language_version:
      - 2
      - 0
    .max_flat_workgroup_size: 1024
    .name:           _ZL24rocblas_symm_hemm_kernelILb0ELb1ELi32EPKfPKS1_PKPfEvbiiT2_T3_lllS8_lllT4_llli
    .private_segment_fixed_size: 0
    .sgpr_count:     42
    .sgpr_spill_count: 0
    .symbol:         _ZL24rocblas_symm_hemm_kernelILb0ELb1ELi32EPKfPKS1_PKPfEvbiiT2_T3_lllS8_lllT4_llli.kd
    .uniform_work_group_size: 1
    .uses_dynamic_stack: false
    .vgpr_count:     34
    .vgpr_spill_count: 0
    .wavefront_size: 32
    .workgroup_processor_mode: 1
  - .args:
      - .offset:         0
        .size:           4
        .value_kind:     by_value
      - .offset:         4
        .size:           4
        .value_kind:     by_value
      - .offset:         8
        .size:           4
        .value_kind:     by_value
      - .address_space:  global
        .offset:         16
        .size:           8
        .value_kind:     global_buffer
      - .offset:         24
        .size:           8
        .value_kind:     by_value
      - .offset:         32
        .size:           8
        .value_kind:     by_value
      - .offset:         40
        .size:           8
        .value_kind:     by_value
      - .offset:         48
        .size:           4
        .value_kind:     by_value
      - .offset:         56
        .size:           4
        .value_kind:     hidden_block_count_x
      - .offset:         60
        .size:           4
        .value_kind:     hidden_block_count_y
      - .offset:         64
        .size:           4
        .value_kind:     hidden_block_count_z
      - .offset:         68
        .size:           2
        .value_kind:     hidden_group_size_x
      - .offset:         70
        .size:           2
        .value_kind:     hidden_group_size_y
      - .offset:         72
        .size:           2
        .value_kind:     hidden_group_size_z
      - .offset:         74
        .size:           2
        .value_kind:     hidden_remainder_x
      - .offset:         76
        .size:           2
        .value_kind:     hidden_remainder_y
      - .offset:         78
        .size:           2
        .value_kind:     hidden_remainder_z
      - .offset:         96
        .size:           8
        .value_kind:     hidden_global_offset_x
      - .offset:         104
        .size:           8
        .value_kind:     hidden_global_offset_y
      - .offset:         112
        .size:           8
        .value_kind:     hidden_global_offset_z
      - .offset:         120
        .size:           2
        .value_kind:     hidden_grid_dims
    .group_segment_fixed_size: 0
    .kernarg_segment_align: 8
    .kernarg_segment_size: 312
    .language:       OpenCL C
    .language_version:
      - 2
      - 0
    .max_flat_workgroup_size: 1024
    .name:           _ZL25rocblas_symm_scale_kernelILi128ELi8EfPKPfEviiT1_T2_llli
    .private_segment_fixed_size: 0
    .sgpr_count:     22
    .sgpr_spill_count: 0
    .symbol:         _ZL25rocblas_symm_scale_kernelILi128ELi8EfPKPfEviiT1_T2_llli.kd
    .uniform_work_group_size: 1
    .uses_dynamic_stack: false
    .vgpr_count:     9
    .vgpr_spill_count: 0
    .wavefront_size: 32
    .workgroup_processor_mode: 1
  - .args:
      - .offset:         0
        .size:           1
        .value_kind:     by_value
      - .offset:         4
        .size:           4
        .value_kind:     by_value
      - .offset:         8
        .size:           4
        .value_kind:     by_value
      - .offset:         12
        .size:           4
        .value_kind:     by_value
      - .address_space:  global
        .offset:         16
        .size:           8
        .value_kind:     global_buffer
      - .offset:         24
        .size:           8
        .value_kind:     by_value
      - .offset:         32
        .size:           8
        .value_kind:     by_value
      - .offset:         40
        .size:           8
        .value_kind:     by_value
      - .address_space:  global
        .offset:         48
        .size:           8
        .value_kind:     global_buffer
      - .offset:         56
        .size:           8
        .value_kind:     by_value
      - .offset:         64
        .size:           8
        .value_kind:     by_value
      - .offset:         72
        .size:           8
        .value_kind:     by_value
      - .address_space:  global
        .offset:         80
        .size:           8
        .value_kind:     global_buffer
      - .offset:         88
        .size:           8
        .value_kind:     by_value
      - .offset:         96
        .size:           8
        .value_kind:     by_value
      - .offset:         104
        .size:           8
        .value_kind:     by_value
      - .offset:         112
        .size:           4
        .value_kind:     by_value
      - .offset:         120
        .size:           4
        .value_kind:     hidden_block_count_x
      - .offset:         124
        .size:           4
        .value_kind:     hidden_block_count_y
      - .offset:         128
        .size:           4
        .value_kind:     hidden_block_count_z
      - .offset:         132
        .size:           2
        .value_kind:     hidden_group_size_x
      - .offset:         134
        .size:           2
        .value_kind:     hidden_group_size_y
      - .offset:         136
        .size:           2
        .value_kind:     hidden_group_size_z
      - .offset:         138
        .size:           2
        .value_kind:     hidden_remainder_x
      - .offset:         140
        .size:           2
        .value_kind:     hidden_remainder_y
      - .offset:         142
        .size:           2
        .value_kind:     hidden_remainder_z
      - .offset:         160
        .size:           8
        .value_kind:     hidden_global_offset_x
      - .offset:         168
        .size:           8
        .value_kind:     hidden_global_offset_y
      - .offset:         176
        .size:           8
        .value_kind:     hidden_global_offset_z
      - .offset:         184
        .size:           2
        .value_kind:     hidden_grid_dims
    .group_segment_fixed_size: 8192
    .kernarg_segment_align: 8
    .kernarg_segment_size: 376
    .language:       OpenCL C
    .language_version:
      - 2
      - 0
    .max_flat_workgroup_size: 1024
    .name:           _ZL24rocblas_symm_hemm_kernelILb0ELb0ELi32EfPKPKfPKPfEvbiiT2_T3_lllS8_lllT4_llli
    .private_segment_fixed_size: 0
    .sgpr_count:     46
    .sgpr_spill_count: 0
    .symbol:         _ZL24rocblas_symm_hemm_kernelILb0ELb0ELi32EfPKPKfPKPfEvbiiT2_T3_lllS8_lllT4_llli.kd
    .uniform_work_group_size: 1
    .uses_dynamic_stack: false
    .vgpr_count:     34
    .vgpr_spill_count: 0
    .wavefront_size: 32
    .workgroup_processor_mode: 1
  - .args:
      - .offset:         0
        .size:           1
        .value_kind:     by_value
      - .offset:         4
        .size:           4
        .value_kind:     by_value
      - .offset:         8
        .size:           4
        .value_kind:     by_value
      - .offset:         12
        .size:           4
        .value_kind:     by_value
      - .address_space:  global
        .offset:         16
        .size:           8
        .value_kind:     global_buffer
      - .offset:         24
        .size:           8
        .value_kind:     by_value
      - .offset:         32
        .size:           8
        .value_kind:     by_value
      - .offset:         40
        .size:           8
        .value_kind:     by_value
      - .address_space:  global
        .offset:         48
        .size:           8
        .value_kind:     global_buffer
      - .offset:         56
        .size:           8
        .value_kind:     by_value
      - .offset:         64
        .size:           8
        .value_kind:     by_value
      - .offset:         72
        .size:           8
        .value_kind:     by_value
      - .address_space:  global
        .offset:         80
        .size:           8
        .value_kind:     global_buffer
      - .offset:         88
        .size:           8
        .value_kind:     by_value
      - .offset:         96
        .size:           8
        .value_kind:     by_value
      - .offset:         104
        .size:           8
        .value_kind:     by_value
      - .offset:         112
        .size:           4
        .value_kind:     by_value
      - .offset:         120
        .size:           4
        .value_kind:     hidden_block_count_x
      - .offset:         124
        .size:           4
        .value_kind:     hidden_block_count_y
      - .offset:         128
        .size:           4
        .value_kind:     hidden_block_count_z
      - .offset:         132
        .size:           2
        .value_kind:     hidden_group_size_x
      - .offset:         134
        .size:           2
        .value_kind:     hidden_group_size_y
      - .offset:         136
        .size:           2
        .value_kind:     hidden_group_size_z
      - .offset:         138
        .size:           2
        .value_kind:     hidden_remainder_x
      - .offset:         140
        .size:           2
        .value_kind:     hidden_remainder_y
      - .offset:         142
        .size:           2
        .value_kind:     hidden_remainder_z
      - .offset:         160
        .size:           8
        .value_kind:     hidden_global_offset_x
      - .offset:         168
        .size:           8
        .value_kind:     hidden_global_offset_y
      - .offset:         176
        .size:           8
        .value_kind:     hidden_global_offset_z
      - .offset:         184
        .size:           2
        .value_kind:     hidden_grid_dims
    .group_segment_fixed_size: 8192
    .kernarg_segment_align: 8
    .kernarg_segment_size: 376
    .language:       OpenCL C
    .language_version:
      - 2
      - 0
    .max_flat_workgroup_size: 1024
    .name:           _ZL24rocblas_symm_hemm_kernelILb0ELb1ELi32EfPKPKfPKPfEvbiiT2_T3_lllS8_lllT4_llli
    .private_segment_fixed_size: 0
    .sgpr_count:     42
    .sgpr_spill_count: 0
    .symbol:         _ZL24rocblas_symm_hemm_kernelILb0ELb1ELi32EfPKPKfPKPfEvbiiT2_T3_lllS8_lllT4_llli.kd
    .uniform_work_group_size: 1
    .uses_dynamic_stack: false
    .vgpr_count:     34
    .vgpr_spill_count: 0
    .wavefront_size: 32
    .workgroup_processor_mode: 1
  - .args:
      - .offset:         0
        .size:           4
        .value_kind:     by_value
      - .offset:         4
        .size:           4
        .value_kind:     by_value
      - .address_space:  global
        .offset:         8
        .size:           8
        .value_kind:     global_buffer
      - .address_space:  global
        .offset:         16
        .size:           8
        .value_kind:     global_buffer
      - .offset:         24
        .size:           8
        .value_kind:     by_value
      - .offset:         32
        .size:           8
        .value_kind:     by_value
      - .offset:         40
        .size:           8
        .value_kind:     by_value
      - .offset:         48
        .size:           4
        .value_kind:     by_value
      - .offset:         56
        .size:           4
        .value_kind:     hidden_block_count_x
      - .offset:         60
        .size:           4
        .value_kind:     hidden_block_count_y
      - .offset:         64
        .size:           4
        .value_kind:     hidden_block_count_z
      - .offset:         68
        .size:           2
        .value_kind:     hidden_group_size_x
      - .offset:         70
        .size:           2
        .value_kind:     hidden_group_size_y
      - .offset:         72
        .size:           2
        .value_kind:     hidden_group_size_z
      - .offset:         74
        .size:           2
        .value_kind:     hidden_remainder_x
      - .offset:         76
        .size:           2
        .value_kind:     hidden_remainder_y
      - .offset:         78
        .size:           2
        .value_kind:     hidden_remainder_z
      - .offset:         96
        .size:           8
        .value_kind:     hidden_global_offset_x
      - .offset:         104
        .size:           8
        .value_kind:     hidden_global_offset_y
      - .offset:         112
        .size:           8
        .value_kind:     hidden_global_offset_z
      - .offset:         120
        .size:           2
        .value_kind:     hidden_grid_dims
    .group_segment_fixed_size: 0
    .kernarg_segment_align: 8
    .kernarg_segment_size: 312
    .language:       OpenCL C
    .language_version:
      - 2
      - 0
    .max_flat_workgroup_size: 1024
    .name:           _ZL25rocblas_symm_scale_kernelILi128ELi8EPKdPKPdEviiT1_T2_llli
    .private_segment_fixed_size: 0
    .sgpr_count:     23
    .sgpr_spill_count: 0
    .symbol:         _ZL25rocblas_symm_scale_kernelILi128ELi8EPKdPKPdEviiT1_T2_llli.kd
    .uniform_work_group_size: 1
    .uses_dynamic_stack: false
    .vgpr_count:     10
    .vgpr_spill_count: 0
    .wavefront_size: 32
    .workgroup_processor_mode: 1
  - .args:
      - .offset:         0
        .size:           1
        .value_kind:     by_value
      - .offset:         4
        .size:           4
        .value_kind:     by_value
      - .offset:         8
        .size:           4
        .value_kind:     by_value
      - .address_space:  global
        .offset:         16
        .size:           8
        .value_kind:     global_buffer
      - .address_space:  global
        .offset:         24
        .size:           8
        .value_kind:     global_buffer
      - .offset:         32
        .size:           8
        .value_kind:     by_value
      - .offset:         40
        .size:           8
        .value_kind:     by_value
      - .offset:         48
        .size:           8
        .value_kind:     by_value
      - .address_space:  global
        .offset:         56
        .size:           8
        .value_kind:     global_buffer
      - .offset:         64
        .size:           8
        .value_kind:     by_value
      - .offset:         72
        .size:           8
        .value_kind:     by_value
      - .offset:         80
        .size:           8
        .value_kind:     by_value
      - .address_space:  global
        .offset:         88
        .size:           8
        .value_kind:     global_buffer
      - .offset:         96
        .size:           8
        .value_kind:     by_value
      - .offset:         104
        .size:           8
        .value_kind:     by_value
      - .offset:         112
        .size:           8
        .value_kind:     by_value
      - .offset:         120
        .size:           4
        .value_kind:     by_value
      - .offset:         128
        .size:           4
        .value_kind:     hidden_block_count_x
      - .offset:         132
        .size:           4
        .value_kind:     hidden_block_count_y
      - .offset:         136
        .size:           4
        .value_kind:     hidden_block_count_z
      - .offset:         140
        .size:           2
        .value_kind:     hidden_group_size_x
      - .offset:         142
        .size:           2
        .value_kind:     hidden_group_size_y
      - .offset:         144
        .size:           2
        .value_kind:     hidden_group_size_z
      - .offset:         146
        .size:           2
        .value_kind:     hidden_remainder_x
      - .offset:         148
        .size:           2
        .value_kind:     hidden_remainder_y
      - .offset:         150
        .size:           2
        .value_kind:     hidden_remainder_z
      - .offset:         168
        .size:           8
        .value_kind:     hidden_global_offset_x
      - .offset:         176
        .size:           8
        .value_kind:     hidden_global_offset_y
      - .offset:         184
        .size:           8
        .value_kind:     hidden_global_offset_z
      - .offset:         192
        .size:           2
        .value_kind:     hidden_grid_dims
    .group_segment_fixed_size: 16384
    .kernarg_segment_align: 8
    .kernarg_segment_size: 384
    .language:       OpenCL C
    .language_version:
      - 2
      - 0
    .max_flat_workgroup_size: 1024
    .name:           _ZL24rocblas_symm_hemm_kernelILb0ELb0ELi32EPKdPKS1_PKPdEvbiiT2_T3_lllS8_lllT4_llli
    .private_segment_fixed_size: 0
    .sgpr_count:     46
    .sgpr_spill_count: 0
    .symbol:         _ZL24rocblas_symm_hemm_kernelILb0ELb0ELi32EPKdPKS1_PKPdEvbiiT2_T3_lllS8_lllT4_llli.kd
    .uniform_work_group_size: 1
    .uses_dynamic_stack: false
    .vgpr_count:     35
    .vgpr_spill_count: 0
    .wavefront_size: 32
    .workgroup_processor_mode: 1
  - .args:
      - .offset:         0
        .size:           1
        .value_kind:     by_value
      - .offset:         4
        .size:           4
        .value_kind:     by_value
      - .offset:         8
        .size:           4
        .value_kind:     by_value
      - .address_space:  global
        .offset:         16
        .size:           8
        .value_kind:     global_buffer
      - .address_space:  global
        .offset:         24
        .size:           8
        .value_kind:     global_buffer
      - .offset:         32
        .size:           8
        .value_kind:     by_value
      - .offset:         40
        .size:           8
        .value_kind:     by_value
      - .offset:         48
        .size:           8
        .value_kind:     by_value
      - .address_space:  global
        .offset:         56
        .size:           8
        .value_kind:     global_buffer
      - .offset:         64
        .size:           8
        .value_kind:     by_value
      - .offset:         72
        .size:           8
        .value_kind:     by_value
      - .offset:         80
        .size:           8
        .value_kind:     by_value
      - .address_space:  global
        .offset:         88
        .size:           8
        .value_kind:     global_buffer
      - .offset:         96
        .size:           8
        .value_kind:     by_value
      - .offset:         104
        .size:           8
        .value_kind:     by_value
      - .offset:         112
        .size:           8
        .value_kind:     by_value
      - .offset:         120
        .size:           4
        .value_kind:     by_value
      - .offset:         128
        .size:           4
        .value_kind:     hidden_block_count_x
      - .offset:         132
        .size:           4
        .value_kind:     hidden_block_count_y
      - .offset:         136
        .size:           4
        .value_kind:     hidden_block_count_z
      - .offset:         140
        .size:           2
        .value_kind:     hidden_group_size_x
      - .offset:         142
        .size:           2
        .value_kind:     hidden_group_size_y
      - .offset:         144
        .size:           2
        .value_kind:     hidden_group_size_z
      - .offset:         146
        .size:           2
        .value_kind:     hidden_remainder_x
      - .offset:         148
        .size:           2
        .value_kind:     hidden_remainder_y
      - .offset:         150
        .size:           2
        .value_kind:     hidden_remainder_z
      - .offset:         168
        .size:           8
        .value_kind:     hidden_global_offset_x
      - .offset:         176
        .size:           8
        .value_kind:     hidden_global_offset_y
      - .offset:         184
        .size:           8
        .value_kind:     hidden_global_offset_z
      - .offset:         192
        .size:           2
        .value_kind:     hidden_grid_dims
    .group_segment_fixed_size: 16384
    .kernarg_segment_align: 8
    .kernarg_segment_size: 384
    .language:       OpenCL C
    .language_version:
      - 2
      - 0
    .max_flat_workgroup_size: 1024
    .name:           _ZL24rocblas_symm_hemm_kernelILb0ELb1ELi32EPKdPKS1_PKPdEvbiiT2_T3_lllS8_lllT4_llli
    .private_segment_fixed_size: 0
    .sgpr_count:     44
    .sgpr_spill_count: 0
    .symbol:         _ZL24rocblas_symm_hemm_kernelILb0ELb1ELi32EPKdPKS1_PKPdEvbiiT2_T3_lllS8_lllT4_llli.kd
    .uniform_work_group_size: 1
    .uses_dynamic_stack: false
    .vgpr_count:     35
    .vgpr_spill_count: 0
    .wavefront_size: 32
    .workgroup_processor_mode: 1
  - .args:
      - .offset:         0
        .size:           4
        .value_kind:     by_value
      - .offset:         4
        .size:           4
        .value_kind:     by_value
      - .offset:         8
        .size:           8
        .value_kind:     by_value
      - .address_space:  global
        .offset:         16
        .size:           8
        .value_kind:     global_buffer
      - .offset:         24
        .size:           8
        .value_kind:     by_value
      - .offset:         32
        .size:           8
        .value_kind:     by_value
      - .offset:         40
        .size:           8
        .value_kind:     by_value
      - .offset:         48
        .size:           4
        .value_kind:     by_value
      - .offset:         56
        .size:           4
        .value_kind:     hidden_block_count_x
      - .offset:         60
        .size:           4
        .value_kind:     hidden_block_count_y
      - .offset:         64
        .size:           4
        .value_kind:     hidden_block_count_z
      - .offset:         68
        .size:           2
        .value_kind:     hidden_group_size_x
      - .offset:         70
        .size:           2
        .value_kind:     hidden_group_size_y
      - .offset:         72
        .size:           2
        .value_kind:     hidden_group_size_z
      - .offset:         74
        .size:           2
        .value_kind:     hidden_remainder_x
      - .offset:         76
        .size:           2
        .value_kind:     hidden_remainder_y
      - .offset:         78
        .size:           2
        .value_kind:     hidden_remainder_z
      - .offset:         96
        .size:           8
        .value_kind:     hidden_global_offset_x
      - .offset:         104
        .size:           8
        .value_kind:     hidden_global_offset_y
      - .offset:         112
        .size:           8
        .value_kind:     hidden_global_offset_z
      - .offset:         120
        .size:           2
        .value_kind:     hidden_grid_dims
    .group_segment_fixed_size: 0
    .kernarg_segment_align: 8
    .kernarg_segment_size: 312
    .language:       OpenCL C
    .language_version:
      - 2
      - 0
    .max_flat_workgroup_size: 1024
    .name:           _ZL25rocblas_symm_scale_kernelILi128ELi8EdPKPdEviiT1_T2_llli
    .private_segment_fixed_size: 0
    .sgpr_count:     23
    .sgpr_spill_count: 0
    .symbol:         _ZL25rocblas_symm_scale_kernelILi128ELi8EdPKPdEviiT1_T2_llli.kd
    .uniform_work_group_size: 1
    .uses_dynamic_stack: false
    .vgpr_count:     10
    .vgpr_spill_count: 0
    .wavefront_size: 32
    .workgroup_processor_mode: 1
  - .args:
      - .offset:         0
        .size:           1
        .value_kind:     by_value
      - .offset:         4
        .size:           4
        .value_kind:     by_value
      - .offset:         8
        .size:           4
        .value_kind:     by_value
      - .offset:         16
        .size:           8
        .value_kind:     by_value
      - .address_space:  global
        .offset:         24
        .size:           8
        .value_kind:     global_buffer
      - .offset:         32
        .size:           8
        .value_kind:     by_value
      - .offset:         40
        .size:           8
        .value_kind:     by_value
      - .offset:         48
        .size:           8
        .value_kind:     by_value
      - .address_space:  global
        .offset:         56
        .size:           8
        .value_kind:     global_buffer
      - .offset:         64
        .size:           8
        .value_kind:     by_value
      - .offset:         72
        .size:           8
        .value_kind:     by_value
      - .offset:         80
        .size:           8
        .value_kind:     by_value
      - .address_space:  global
        .offset:         88
        .size:           8
        .value_kind:     global_buffer
      - .offset:         96
        .size:           8
        .value_kind:     by_value
      - .offset:         104
        .size:           8
        .value_kind:     by_value
      - .offset:         112
        .size:           8
        .value_kind:     by_value
      - .offset:         120
        .size:           4
        .value_kind:     by_value
      - .offset:         128
        .size:           4
        .value_kind:     hidden_block_count_x
      - .offset:         132
        .size:           4
        .value_kind:     hidden_block_count_y
      - .offset:         136
        .size:           4
        .value_kind:     hidden_block_count_z
      - .offset:         140
        .size:           2
        .value_kind:     hidden_group_size_x
      - .offset:         142
        .size:           2
        .value_kind:     hidden_group_size_y
      - .offset:         144
        .size:           2
        .value_kind:     hidden_group_size_z
      - .offset:         146
        .size:           2
        .value_kind:     hidden_remainder_x
      - .offset:         148
        .size:           2
        .value_kind:     hidden_remainder_y
      - .offset:         150
        .size:           2
        .value_kind:     hidden_remainder_z
      - .offset:         168
        .size:           8
        .value_kind:     hidden_global_offset_x
      - .offset:         176
        .size:           8
        .value_kind:     hidden_global_offset_y
      - .offset:         184
        .size:           8
        .value_kind:     hidden_global_offset_z
      - .offset:         192
        .size:           2
        .value_kind:     hidden_grid_dims
    .group_segment_fixed_size: 16384
    .kernarg_segment_align: 8
    .kernarg_segment_size: 384
    .language:       OpenCL C
    .language_version:
      - 2
      - 0
    .max_flat_workgroup_size: 1024
    .name:           _ZL24rocblas_symm_hemm_kernelILb0ELb0ELi32EdPKPKdPKPdEvbiiT2_T3_lllS8_lllT4_llli
    .private_segment_fixed_size: 0
    .sgpr_count:     46
    .sgpr_spill_count: 0
    .symbol:         _ZL24rocblas_symm_hemm_kernelILb0ELb0ELi32EdPKPKdPKPdEvbiiT2_T3_lllS8_lllT4_llli.kd
    .uniform_work_group_size: 1
    .uses_dynamic_stack: false
    .vgpr_count:     35
    .vgpr_spill_count: 0
    .wavefront_size: 32
    .workgroup_processor_mode: 1
  - .args:
      - .offset:         0
        .size:           1
        .value_kind:     by_value
      - .offset:         4
        .size:           4
        .value_kind:     by_value
      - .offset:         8
        .size:           4
        .value_kind:     by_value
      - .offset:         16
        .size:           8
        .value_kind:     by_value
      - .address_space:  global
        .offset:         24
        .size:           8
        .value_kind:     global_buffer
      - .offset:         32
        .size:           8
        .value_kind:     by_value
      - .offset:         40
        .size:           8
        .value_kind:     by_value
      - .offset:         48
        .size:           8
        .value_kind:     by_value
      - .address_space:  global
        .offset:         56
        .size:           8
        .value_kind:     global_buffer
      - .offset:         64
        .size:           8
        .value_kind:     by_value
      - .offset:         72
        .size:           8
        .value_kind:     by_value
      - .offset:         80
        .size:           8
        .value_kind:     by_value
      - .address_space:  global
        .offset:         88
        .size:           8
        .value_kind:     global_buffer
      - .offset:         96
        .size:           8
        .value_kind:     by_value
      - .offset:         104
        .size:           8
        .value_kind:     by_value
      - .offset:         112
        .size:           8
        .value_kind:     by_value
      - .offset:         120
        .size:           4
        .value_kind:     by_value
      - .offset:         128
        .size:           4
        .value_kind:     hidden_block_count_x
      - .offset:         132
        .size:           4
        .value_kind:     hidden_block_count_y
      - .offset:         136
        .size:           4
        .value_kind:     hidden_block_count_z
      - .offset:         140
        .size:           2
        .value_kind:     hidden_group_size_x
      - .offset:         142
        .size:           2
        .value_kind:     hidden_group_size_y
      - .offset:         144
        .size:           2
        .value_kind:     hidden_group_size_z
      - .offset:         146
        .size:           2
        .value_kind:     hidden_remainder_x
      - .offset:         148
        .size:           2
        .value_kind:     hidden_remainder_y
      - .offset:         150
        .size:           2
        .value_kind:     hidden_remainder_z
      - .offset:         168
        .size:           8
        .value_kind:     hidden_global_offset_x
      - .offset:         176
        .size:           8
        .value_kind:     hidden_global_offset_y
      - .offset:         184
        .size:           8
        .value_kind:     hidden_global_offset_z
      - .offset:         192
        .size:           2
        .value_kind:     hidden_grid_dims
    .group_segment_fixed_size: 16384
    .kernarg_segment_align: 8
    .kernarg_segment_size: 384
    .language:       OpenCL C
    .language_version:
      - 2
      - 0
    .max_flat_workgroup_size: 1024
    .name:           _ZL24rocblas_symm_hemm_kernelILb0ELb1ELi32EdPKPKdPKPdEvbiiT2_T3_lllS8_lllT4_llli
    .private_segment_fixed_size: 0
    .sgpr_count:     44
    .sgpr_spill_count: 0
    .symbol:         _ZL24rocblas_symm_hemm_kernelILb0ELb1ELi32EdPKPKdPKPdEvbiiT2_T3_lllS8_lllT4_llli.kd
    .uniform_work_group_size: 1
    .uses_dynamic_stack: false
    .vgpr_count:     35
    .vgpr_spill_count: 0
    .wavefront_size: 32
    .workgroup_processor_mode: 1
  - .args:
      - .offset:         0
        .size:           4
        .value_kind:     by_value
      - .offset:         4
        .size:           4
        .value_kind:     by_value
      - .address_space:  global
        .offset:         8
        .size:           8
        .value_kind:     global_buffer
      - .address_space:  global
        .offset:         16
        .size:           8
        .value_kind:     global_buffer
      - .offset:         24
        .size:           8
        .value_kind:     by_value
      - .offset:         32
        .size:           8
        .value_kind:     by_value
      - .offset:         40
        .size:           8
        .value_kind:     by_value
      - .offset:         48
        .size:           4
        .value_kind:     by_value
      - .offset:         56
        .size:           4
        .value_kind:     hidden_block_count_x
      - .offset:         60
        .size:           4
        .value_kind:     hidden_block_count_y
      - .offset:         64
        .size:           4
        .value_kind:     hidden_block_count_z
      - .offset:         68
        .size:           2
        .value_kind:     hidden_group_size_x
      - .offset:         70
        .size:           2
        .value_kind:     hidden_group_size_y
      - .offset:         72
        .size:           2
        .value_kind:     hidden_group_size_z
      - .offset:         74
        .size:           2
        .value_kind:     hidden_remainder_x
      - .offset:         76
        .size:           2
        .value_kind:     hidden_remainder_y
      - .offset:         78
        .size:           2
        .value_kind:     hidden_remainder_z
      - .offset:         96
        .size:           8
        .value_kind:     hidden_global_offset_x
      - .offset:         104
        .size:           8
        .value_kind:     hidden_global_offset_y
      - .offset:         112
        .size:           8
        .value_kind:     hidden_global_offset_z
      - .offset:         120
        .size:           2
        .value_kind:     hidden_grid_dims
    .group_segment_fixed_size: 0
    .kernarg_segment_align: 8
    .kernarg_segment_size: 312
    .language:       OpenCL C
    .language_version:
      - 2
      - 0
    .max_flat_workgroup_size: 1024
    .name:           _ZL25rocblas_symm_scale_kernelILi128ELi8EPK19rocblas_complex_numIfEPKPS1_EviiT1_T2_llli
    .private_segment_fixed_size: 0
    .sgpr_count:     23
    .sgpr_spill_count: 0
    .symbol:         _ZL25rocblas_symm_scale_kernelILi128ELi8EPK19rocblas_complex_numIfEPKPS1_EviiT1_T2_llli.kd
    .uniform_work_group_size: 1
    .uses_dynamic_stack: false
    .vgpr_count:     12
    .vgpr_spill_count: 0
    .wavefront_size: 32
    .workgroup_processor_mode: 1
  - .args:
      - .offset:         0
        .size:           1
        .value_kind:     by_value
      - .offset:         4
        .size:           4
        .value_kind:     by_value
      - .offset:         8
        .size:           4
        .value_kind:     by_value
      - .address_space:  global
        .offset:         16
        .size:           8
        .value_kind:     global_buffer
      - .address_space:  global
        .offset:         24
        .size:           8
        .value_kind:     global_buffer
      - .offset:         32
        .size:           8
        .value_kind:     by_value
      - .offset:         40
        .size:           8
        .value_kind:     by_value
      - .offset:         48
        .size:           8
        .value_kind:     by_value
      - .address_space:  global
        .offset:         56
        .size:           8
        .value_kind:     global_buffer
      - .offset:         64
        .size:           8
        .value_kind:     by_value
      - .offset:         72
        .size:           8
        .value_kind:     by_value
      - .offset:         80
        .size:           8
        .value_kind:     by_value
      - .address_space:  global
        .offset:         88
        .size:           8
        .value_kind:     global_buffer
      - .offset:         96
        .size:           8
        .value_kind:     by_value
      - .offset:         104
        .size:           8
        .value_kind:     by_value
      - .offset:         112
        .size:           8
        .value_kind:     by_value
      - .offset:         120
        .size:           4
        .value_kind:     by_value
      - .offset:         128
        .size:           4
        .value_kind:     hidden_block_count_x
      - .offset:         132
        .size:           4
        .value_kind:     hidden_block_count_y
      - .offset:         136
        .size:           4
        .value_kind:     hidden_block_count_z
      - .offset:         140
        .size:           2
        .value_kind:     hidden_group_size_x
      - .offset:         142
        .size:           2
        .value_kind:     hidden_group_size_y
      - .offset:         144
        .size:           2
        .value_kind:     hidden_group_size_z
      - .offset:         146
        .size:           2
        .value_kind:     hidden_remainder_x
      - .offset:         148
        .size:           2
        .value_kind:     hidden_remainder_y
      - .offset:         150
        .size:           2
        .value_kind:     hidden_remainder_z
      - .offset:         168
        .size:           8
        .value_kind:     hidden_global_offset_x
      - .offset:         176
        .size:           8
        .value_kind:     hidden_global_offset_y
      - .offset:         184
        .size:           8
        .value_kind:     hidden_global_offset_z
      - .offset:         192
        .size:           2
        .value_kind:     hidden_grid_dims
    .group_segment_fixed_size: 16384
    .kernarg_segment_align: 8
    .kernarg_segment_size: 384
    .language:       OpenCL C
    .language_version:
      - 2
      - 0
    .max_flat_workgroup_size: 1024
    .name:           _ZL24rocblas_symm_hemm_kernelILb0ELb0ELi32EPK19rocblas_complex_numIfEPKS3_PKPS1_EvbiiT2_T3_lllSA_lllT4_llli
    .private_segment_fixed_size: 0
    .sgpr_count:     42
    .sgpr_spill_count: 0
    .symbol:         _ZL24rocblas_symm_hemm_kernelILb0ELb0ELi32EPK19rocblas_complex_numIfEPKS3_PKPS1_EvbiiT2_T3_lllSA_lllT4_llli.kd
    .uniform_work_group_size: 1
    .uses_dynamic_stack: false
    .vgpr_count:     139
    .vgpr_spill_count: 0
    .wavefront_size: 32
    .workgroup_processor_mode: 1
  - .args:
      - .offset:         0
        .size:           1
        .value_kind:     by_value
      - .offset:         4
        .size:           4
        .value_kind:     by_value
      - .offset:         8
        .size:           4
        .value_kind:     by_value
      - .address_space:  global
        .offset:         16
        .size:           8
        .value_kind:     global_buffer
      - .address_space:  global
        .offset:         24
        .size:           8
        .value_kind:     global_buffer
      - .offset:         32
        .size:           8
        .value_kind:     by_value
      - .offset:         40
        .size:           8
        .value_kind:     by_value
      - .offset:         48
        .size:           8
        .value_kind:     by_value
      - .address_space:  global
        .offset:         56
        .size:           8
        .value_kind:     global_buffer
      - .offset:         64
        .size:           8
        .value_kind:     by_value
      - .offset:         72
        .size:           8
        .value_kind:     by_value
      - .offset:         80
        .size:           8
        .value_kind:     by_value
      - .address_space:  global
        .offset:         88
        .size:           8
        .value_kind:     global_buffer
      - .offset:         96
        .size:           8
        .value_kind:     by_value
      - .offset:         104
        .size:           8
        .value_kind:     by_value
      - .offset:         112
        .size:           8
        .value_kind:     by_value
      - .offset:         120
        .size:           4
        .value_kind:     by_value
      - .offset:         128
        .size:           4
        .value_kind:     hidden_block_count_x
      - .offset:         132
        .size:           4
        .value_kind:     hidden_block_count_y
      - .offset:         136
        .size:           4
        .value_kind:     hidden_block_count_z
      - .offset:         140
        .size:           2
        .value_kind:     hidden_group_size_x
      - .offset:         142
        .size:           2
        .value_kind:     hidden_group_size_y
      - .offset:         144
        .size:           2
        .value_kind:     hidden_group_size_z
      - .offset:         146
        .size:           2
        .value_kind:     hidden_remainder_x
      - .offset:         148
        .size:           2
        .value_kind:     hidden_remainder_y
      - .offset:         150
        .size:           2
        .value_kind:     hidden_remainder_z
      - .offset:         168
        .size:           8
        .value_kind:     hidden_global_offset_x
      - .offset:         176
        .size:           8
        .value_kind:     hidden_global_offset_y
      - .offset:         184
        .size:           8
        .value_kind:     hidden_global_offset_z
      - .offset:         192
        .size:           2
        .value_kind:     hidden_grid_dims
    .group_segment_fixed_size: 16384
    .kernarg_segment_align: 8
    .kernarg_segment_size: 384
    .language:       OpenCL C
    .language_version:
      - 2
      - 0
    .max_flat_workgroup_size: 1024
    .name:           _ZL24rocblas_symm_hemm_kernelILb0ELb1ELi32EPK19rocblas_complex_numIfEPKS3_PKPS1_EvbiiT2_T3_lllSA_lllT4_llli
    .private_segment_fixed_size: 0
    .sgpr_count:     41
    .sgpr_spill_count: 0
    .symbol:         _ZL24rocblas_symm_hemm_kernelILb0ELb1ELi32EPK19rocblas_complex_numIfEPKS3_PKPS1_EvbiiT2_T3_lllSA_lllT4_llli.kd
    .uniform_work_group_size: 1
    .uses_dynamic_stack: false
    .vgpr_count:     137
    .vgpr_spill_count: 0
    .wavefront_size: 32
    .workgroup_processor_mode: 1
  - .args:
      - .offset:         0
        .size:           4
        .value_kind:     by_value
      - .offset:         4
        .size:           4
        .value_kind:     by_value
      - .offset:         8
        .size:           8
        .value_kind:     by_value
      - .address_space:  global
        .offset:         16
        .size:           8
        .value_kind:     global_buffer
      - .offset:         24
        .size:           8
        .value_kind:     by_value
      - .offset:         32
        .size:           8
        .value_kind:     by_value
      - .offset:         40
        .size:           8
        .value_kind:     by_value
      - .offset:         48
        .size:           4
        .value_kind:     by_value
      - .offset:         56
        .size:           4
        .value_kind:     hidden_block_count_x
      - .offset:         60
        .size:           4
        .value_kind:     hidden_block_count_y
      - .offset:         64
        .size:           4
        .value_kind:     hidden_block_count_z
      - .offset:         68
        .size:           2
        .value_kind:     hidden_group_size_x
      - .offset:         70
        .size:           2
        .value_kind:     hidden_group_size_y
      - .offset:         72
        .size:           2
        .value_kind:     hidden_group_size_z
      - .offset:         74
        .size:           2
        .value_kind:     hidden_remainder_x
      - .offset:         76
        .size:           2
        .value_kind:     hidden_remainder_y
      - .offset:         78
        .size:           2
        .value_kind:     hidden_remainder_z
      - .offset:         96
        .size:           8
        .value_kind:     hidden_global_offset_x
      - .offset:         104
        .size:           8
        .value_kind:     hidden_global_offset_y
      - .offset:         112
        .size:           8
        .value_kind:     hidden_global_offset_z
      - .offset:         120
        .size:           2
        .value_kind:     hidden_grid_dims
    .group_segment_fixed_size: 0
    .kernarg_segment_align: 8
    .kernarg_segment_size: 312
    .language:       OpenCL C
    .language_version:
      - 2
      - 0
    .max_flat_workgroup_size: 1024
    .name:           _ZL25rocblas_symm_scale_kernelILi128ELi8E19rocblas_complex_numIfEPKPS1_EviiT1_T2_llli
    .private_segment_fixed_size: 0
    .sgpr_count:     23
    .sgpr_spill_count: 0
    .symbol:         _ZL25rocblas_symm_scale_kernelILi128ELi8E19rocblas_complex_numIfEPKPS1_EviiT1_T2_llli.kd
    .uniform_work_group_size: 1
    .uses_dynamic_stack: false
    .vgpr_count:     12
    .vgpr_spill_count: 0
    .wavefront_size: 32
    .workgroup_processor_mode: 1
  - .args:
      - .offset:         0
        .size:           1
        .value_kind:     by_value
      - .offset:         4
        .size:           4
        .value_kind:     by_value
      - .offset:         8
        .size:           4
        .value_kind:     by_value
      - .offset:         12
        .size:           8
        .value_kind:     by_value
      - .address_space:  global
        .offset:         24
        .size:           8
        .value_kind:     global_buffer
      - .offset:         32
        .size:           8
        .value_kind:     by_value
      - .offset:         40
        .size:           8
        .value_kind:     by_value
      - .offset:         48
        .size:           8
        .value_kind:     by_value
      - .address_space:  global
        .offset:         56
        .size:           8
        .value_kind:     global_buffer
      - .offset:         64
        .size:           8
        .value_kind:     by_value
      - .offset:         72
        .size:           8
        .value_kind:     by_value
      - .offset:         80
        .size:           8
        .value_kind:     by_value
      - .address_space:  global
        .offset:         88
        .size:           8
        .value_kind:     global_buffer
      - .offset:         96
        .size:           8
        .value_kind:     by_value
      - .offset:         104
        .size:           8
        .value_kind:     by_value
      - .offset:         112
        .size:           8
        .value_kind:     by_value
      - .offset:         120
        .size:           4
        .value_kind:     by_value
      - .offset:         128
        .size:           4
        .value_kind:     hidden_block_count_x
      - .offset:         132
        .size:           4
        .value_kind:     hidden_block_count_y
      - .offset:         136
        .size:           4
        .value_kind:     hidden_block_count_z
      - .offset:         140
        .size:           2
        .value_kind:     hidden_group_size_x
      - .offset:         142
        .size:           2
        .value_kind:     hidden_group_size_y
      - .offset:         144
        .size:           2
        .value_kind:     hidden_group_size_z
      - .offset:         146
        .size:           2
        .value_kind:     hidden_remainder_x
      - .offset:         148
        .size:           2
        .value_kind:     hidden_remainder_y
      - .offset:         150
        .size:           2
        .value_kind:     hidden_remainder_z
      - .offset:         168
        .size:           8
        .value_kind:     hidden_global_offset_x
      - .offset:         176
        .size:           8
        .value_kind:     hidden_global_offset_y
      - .offset:         184
        .size:           8
        .value_kind:     hidden_global_offset_z
      - .offset:         192
        .size:           2
        .value_kind:     hidden_grid_dims
    .group_segment_fixed_size: 16384
    .kernarg_segment_align: 8
    .kernarg_segment_size: 384
    .language:       OpenCL C
    .language_version:
      - 2
      - 0
    .max_flat_workgroup_size: 1024
    .name:           _ZL24rocblas_symm_hemm_kernelILb0ELb0ELi32E19rocblas_complex_numIfEPKPKS1_PKPS1_EvbiiT2_T3_lllSA_lllT4_llli
    .private_segment_fixed_size: 0
    .sgpr_count:     42
    .sgpr_spill_count: 0
    .symbol:         _ZL24rocblas_symm_hemm_kernelILb0ELb0ELi32E19rocblas_complex_numIfEPKPKS1_PKPS1_EvbiiT2_T3_lllSA_lllT4_llli.kd
    .uniform_work_group_size: 1
    .uses_dynamic_stack: false
    .vgpr_count:     139
    .vgpr_spill_count: 0
    .wavefront_size: 32
    .workgroup_processor_mode: 1
  - .args:
      - .offset:         0
        .size:           1
        .value_kind:     by_value
      - .offset:         4
        .size:           4
        .value_kind:     by_value
      - .offset:         8
        .size:           4
        .value_kind:     by_value
      - .offset:         12
        .size:           8
        .value_kind:     by_value
      - .address_space:  global
        .offset:         24
        .size:           8
        .value_kind:     global_buffer
      - .offset:         32
        .size:           8
        .value_kind:     by_value
      - .offset:         40
        .size:           8
        .value_kind:     by_value
      - .offset:         48
        .size:           8
        .value_kind:     by_value
      - .address_space:  global
        .offset:         56
        .size:           8
        .value_kind:     global_buffer
      - .offset:         64
        .size:           8
        .value_kind:     by_value
      - .offset:         72
        .size:           8
        .value_kind:     by_value
      - .offset:         80
        .size:           8
        .value_kind:     by_value
      - .address_space:  global
        .offset:         88
        .size:           8
        .value_kind:     global_buffer
      - .offset:         96
        .size:           8
        .value_kind:     by_value
      - .offset:         104
        .size:           8
        .value_kind:     by_value
      - .offset:         112
        .size:           8
        .value_kind:     by_value
      - .offset:         120
        .size:           4
        .value_kind:     by_value
      - .offset:         128
        .size:           4
        .value_kind:     hidden_block_count_x
      - .offset:         132
        .size:           4
        .value_kind:     hidden_block_count_y
      - .offset:         136
        .size:           4
        .value_kind:     hidden_block_count_z
      - .offset:         140
        .size:           2
        .value_kind:     hidden_group_size_x
      - .offset:         142
        .size:           2
        .value_kind:     hidden_group_size_y
      - .offset:         144
        .size:           2
        .value_kind:     hidden_group_size_z
      - .offset:         146
        .size:           2
        .value_kind:     hidden_remainder_x
      - .offset:         148
        .size:           2
        .value_kind:     hidden_remainder_y
      - .offset:         150
        .size:           2
        .value_kind:     hidden_remainder_z
      - .offset:         168
        .size:           8
        .value_kind:     hidden_global_offset_x
      - .offset:         176
        .size:           8
        .value_kind:     hidden_global_offset_y
      - .offset:         184
        .size:           8
        .value_kind:     hidden_global_offset_z
      - .offset:         192
        .size:           2
        .value_kind:     hidden_grid_dims
    .group_segment_fixed_size: 16384
    .kernarg_segment_align: 8
    .kernarg_segment_size: 384
    .language:       OpenCL C
    .language_version:
      - 2
      - 0
    .max_flat_workgroup_size: 1024
    .name:           _ZL24rocblas_symm_hemm_kernelILb0ELb1ELi32E19rocblas_complex_numIfEPKPKS1_PKPS1_EvbiiT2_T3_lllSA_lllT4_llli
    .private_segment_fixed_size: 0
    .sgpr_count:     41
    .sgpr_spill_count: 0
    .symbol:         _ZL24rocblas_symm_hemm_kernelILb0ELb1ELi32E19rocblas_complex_numIfEPKPKS1_PKPS1_EvbiiT2_T3_lllSA_lllT4_llli.kd
    .uniform_work_group_size: 1
    .uses_dynamic_stack: false
    .vgpr_count:     137
    .vgpr_spill_count: 0
    .wavefront_size: 32
    .workgroup_processor_mode: 1
  - .args:
      - .offset:         0
        .size:           4
        .value_kind:     by_value
      - .offset:         4
        .size:           4
        .value_kind:     by_value
      - .address_space:  global
        .offset:         8
        .size:           8
        .value_kind:     global_buffer
      - .address_space:  global
        .offset:         16
        .size:           8
        .value_kind:     global_buffer
      - .offset:         24
        .size:           8
        .value_kind:     by_value
      - .offset:         32
        .size:           8
        .value_kind:     by_value
      - .offset:         40
        .size:           8
        .value_kind:     by_value
      - .offset:         48
        .size:           4
        .value_kind:     by_value
      - .offset:         56
        .size:           4
        .value_kind:     hidden_block_count_x
      - .offset:         60
        .size:           4
        .value_kind:     hidden_block_count_y
      - .offset:         64
        .size:           4
        .value_kind:     hidden_block_count_z
      - .offset:         68
        .size:           2
        .value_kind:     hidden_group_size_x
      - .offset:         70
        .size:           2
        .value_kind:     hidden_group_size_y
      - .offset:         72
        .size:           2
        .value_kind:     hidden_group_size_z
      - .offset:         74
        .size:           2
        .value_kind:     hidden_remainder_x
      - .offset:         76
        .size:           2
        .value_kind:     hidden_remainder_y
      - .offset:         78
        .size:           2
        .value_kind:     hidden_remainder_z
      - .offset:         96
        .size:           8
        .value_kind:     hidden_global_offset_x
      - .offset:         104
        .size:           8
        .value_kind:     hidden_global_offset_y
      - .offset:         112
        .size:           8
        .value_kind:     hidden_global_offset_z
      - .offset:         120
        .size:           2
        .value_kind:     hidden_grid_dims
    .group_segment_fixed_size: 0
    .kernarg_segment_align: 8
    .kernarg_segment_size: 312
    .language:       OpenCL C
    .language_version:
      - 2
      - 0
    .max_flat_workgroup_size: 1024
    .name:           _ZL25rocblas_symm_scale_kernelILi128ELi8EPK19rocblas_complex_numIdEPKPS1_EviiT1_T2_llli
    .private_segment_fixed_size: 0
    .sgpr_count:     25
    .sgpr_spill_count: 0
    .symbol:         _ZL25rocblas_symm_scale_kernelILi128ELi8EPK19rocblas_complex_numIdEPKPS1_EviiT1_T2_llli.kd
    .uniform_work_group_size: 1
    .uses_dynamic_stack: false
    .vgpr_count:     16
    .vgpr_spill_count: 0
    .wavefront_size: 32
    .workgroup_processor_mode: 1
  - .args:
      - .offset:         0
        .size:           1
        .value_kind:     by_value
      - .offset:         4
        .size:           4
        .value_kind:     by_value
      - .offset:         8
        .size:           4
        .value_kind:     by_value
      - .address_space:  global
        .offset:         16
        .size:           8
        .value_kind:     global_buffer
      - .address_space:  global
        .offset:         24
        .size:           8
        .value_kind:     global_buffer
      - .offset:         32
        .size:           8
        .value_kind:     by_value
      - .offset:         40
        .size:           8
        .value_kind:     by_value
      - .offset:         48
        .size:           8
        .value_kind:     by_value
      - .address_space:  global
        .offset:         56
        .size:           8
        .value_kind:     global_buffer
      - .offset:         64
        .size:           8
        .value_kind:     by_value
      - .offset:         72
        .size:           8
        .value_kind:     by_value
      - .offset:         80
        .size:           8
        .value_kind:     by_value
      - .address_space:  global
        .offset:         88
        .size:           8
        .value_kind:     global_buffer
      - .offset:         96
        .size:           8
        .value_kind:     by_value
      - .offset:         104
        .size:           8
        .value_kind:     by_value
      - .offset:         112
        .size:           8
        .value_kind:     by_value
      - .offset:         120
        .size:           4
        .value_kind:     by_value
      - .offset:         128
        .size:           4
        .value_kind:     hidden_block_count_x
      - .offset:         132
        .size:           4
        .value_kind:     hidden_block_count_y
      - .offset:         136
        .size:           4
        .value_kind:     hidden_block_count_z
      - .offset:         140
        .size:           2
        .value_kind:     hidden_group_size_x
      - .offset:         142
        .size:           2
        .value_kind:     hidden_group_size_y
      - .offset:         144
        .size:           2
        .value_kind:     hidden_group_size_z
      - .offset:         146
        .size:           2
        .value_kind:     hidden_remainder_x
      - .offset:         148
        .size:           2
        .value_kind:     hidden_remainder_y
      - .offset:         150
        .size:           2
        .value_kind:     hidden_remainder_z
      - .offset:         168
        .size:           8
        .value_kind:     hidden_global_offset_x
      - .offset:         176
        .size:           8
        .value_kind:     hidden_global_offset_y
      - .offset:         184
        .size:           8
        .value_kind:     hidden_global_offset_z
      - .offset:         192
        .size:           2
        .value_kind:     hidden_grid_dims
    .group_segment_fixed_size: 32768
    .kernarg_segment_align: 8
    .kernarg_segment_size: 384
    .language:       OpenCL C
    .language_version:
      - 2
      - 0
    .max_flat_workgroup_size: 1024
    .name:           _ZL24rocblas_symm_hemm_kernelILb0ELb0ELi32EPK19rocblas_complex_numIdEPKS3_PKPS1_EvbiiT2_T3_lllSA_lllT4_llli
    .private_segment_fixed_size: 0
    .sgpr_count:     48
    .sgpr_spill_count: 0
    .symbol:         _ZL24rocblas_symm_hemm_kernelILb0ELb0ELi32EPK19rocblas_complex_numIdEPKS3_PKPS1_EvbiiT2_T3_lllSA_lllT4_llli.kd
    .uniform_work_group_size: 1
    .uses_dynamic_stack: false
    .vgpr_count:     53
    .vgpr_spill_count: 0
    .wavefront_size: 32
    .workgroup_processor_mode: 1
  - .args:
      - .offset:         0
        .size:           1
        .value_kind:     by_value
      - .offset:         4
        .size:           4
        .value_kind:     by_value
      - .offset:         8
        .size:           4
        .value_kind:     by_value
      - .address_space:  global
        .offset:         16
        .size:           8
        .value_kind:     global_buffer
      - .address_space:  global
        .offset:         24
        .size:           8
        .value_kind:     global_buffer
      - .offset:         32
        .size:           8
        .value_kind:     by_value
      - .offset:         40
        .size:           8
        .value_kind:     by_value
      - .offset:         48
        .size:           8
        .value_kind:     by_value
      - .address_space:  global
        .offset:         56
        .size:           8
        .value_kind:     global_buffer
      - .offset:         64
        .size:           8
        .value_kind:     by_value
      - .offset:         72
        .size:           8
        .value_kind:     by_value
      - .offset:         80
        .size:           8
        .value_kind:     by_value
      - .address_space:  global
        .offset:         88
        .size:           8
        .value_kind:     global_buffer
      - .offset:         96
        .size:           8
        .value_kind:     by_value
      - .offset:         104
        .size:           8
        .value_kind:     by_value
      - .offset:         112
        .size:           8
        .value_kind:     by_value
      - .offset:         120
        .size:           4
        .value_kind:     by_value
      - .offset:         128
        .size:           4
        .value_kind:     hidden_block_count_x
      - .offset:         132
        .size:           4
        .value_kind:     hidden_block_count_y
      - .offset:         136
        .size:           4
        .value_kind:     hidden_block_count_z
      - .offset:         140
        .size:           2
        .value_kind:     hidden_group_size_x
      - .offset:         142
        .size:           2
        .value_kind:     hidden_group_size_y
      - .offset:         144
        .size:           2
        .value_kind:     hidden_group_size_z
      - .offset:         146
        .size:           2
        .value_kind:     hidden_remainder_x
      - .offset:         148
        .size:           2
        .value_kind:     hidden_remainder_y
      - .offset:         150
        .size:           2
        .value_kind:     hidden_remainder_z
      - .offset:         168
        .size:           8
        .value_kind:     hidden_global_offset_x
      - .offset:         176
        .size:           8
        .value_kind:     hidden_global_offset_y
      - .offset:         184
        .size:           8
        .value_kind:     hidden_global_offset_z
      - .offset:         192
        .size:           2
        .value_kind:     hidden_grid_dims
    .group_segment_fixed_size: 32768
    .kernarg_segment_align: 8
    .kernarg_segment_size: 384
    .language:       OpenCL C
    .language_version:
      - 2
      - 0
    .max_flat_workgroup_size: 1024
    .name:           _ZL24rocblas_symm_hemm_kernelILb0ELb1ELi32EPK19rocblas_complex_numIdEPKS3_PKPS1_EvbiiT2_T3_lllSA_lllT4_llli
    .private_segment_fixed_size: 0
    .sgpr_count:     46
    .sgpr_spill_count: 0
    .symbol:         _ZL24rocblas_symm_hemm_kernelILb0ELb1ELi32EPK19rocblas_complex_numIdEPKS3_PKPS1_EvbiiT2_T3_lllSA_lllT4_llli.kd
    .uniform_work_group_size: 1
    .uses_dynamic_stack: false
    .vgpr_count:     53
    .vgpr_spill_count: 0
    .wavefront_size: 32
    .workgroup_processor_mode: 1
  - .args:
      - .offset:         0
        .size:           4
        .value_kind:     by_value
      - .offset:         4
        .size:           4
        .value_kind:     by_value
      - .offset:         8
        .size:           16
        .value_kind:     by_value
      - .address_space:  global
        .offset:         24
        .size:           8
        .value_kind:     global_buffer
      - .offset:         32
        .size:           8
        .value_kind:     by_value
      - .offset:         40
        .size:           8
        .value_kind:     by_value
      - .offset:         48
        .size:           8
        .value_kind:     by_value
      - .offset:         56
        .size:           4
        .value_kind:     by_value
      - .offset:         64
        .size:           4
        .value_kind:     hidden_block_count_x
      - .offset:         68
        .size:           4
        .value_kind:     hidden_block_count_y
      - .offset:         72
        .size:           4
        .value_kind:     hidden_block_count_z
      - .offset:         76
        .size:           2
        .value_kind:     hidden_group_size_x
      - .offset:         78
        .size:           2
        .value_kind:     hidden_group_size_y
      - .offset:         80
        .size:           2
        .value_kind:     hidden_group_size_z
      - .offset:         82
        .size:           2
        .value_kind:     hidden_remainder_x
      - .offset:         84
        .size:           2
        .value_kind:     hidden_remainder_y
      - .offset:         86
        .size:           2
        .value_kind:     hidden_remainder_z
      - .offset:         104
        .size:           8
        .value_kind:     hidden_global_offset_x
      - .offset:         112
        .size:           8
        .value_kind:     hidden_global_offset_y
      - .offset:         120
        .size:           8
        .value_kind:     hidden_global_offset_z
      - .offset:         128
        .size:           2
        .value_kind:     hidden_grid_dims
    .group_segment_fixed_size: 0
    .kernarg_segment_align: 8
    .kernarg_segment_size: 320
    .language:       OpenCL C
    .language_version:
      - 2
      - 0
    .max_flat_workgroup_size: 1024
    .name:           _ZL25rocblas_symm_scale_kernelILi128ELi8E19rocblas_complex_numIdEPKPS1_EviiT1_T2_llli
    .private_segment_fixed_size: 0
    .sgpr_count:     25
    .sgpr_spill_count: 0
    .symbol:         _ZL25rocblas_symm_scale_kernelILi128ELi8E19rocblas_complex_numIdEPKPS1_EviiT1_T2_llli.kd
    .uniform_work_group_size: 1
    .uses_dynamic_stack: false
    .vgpr_count:     16
    .vgpr_spill_count: 0
    .wavefront_size: 32
    .workgroup_processor_mode: 1
  - .args:
      - .offset:         0
        .size:           1
        .value_kind:     by_value
      - .offset:         4
        .size:           4
        .value_kind:     by_value
      - .offset:         8
        .size:           4
        .value_kind:     by_value
      - .offset:         16
        .size:           16
        .value_kind:     by_value
      - .address_space:  global
        .offset:         32
        .size:           8
        .value_kind:     global_buffer
      - .offset:         40
        .size:           8
        .value_kind:     by_value
      - .offset:         48
        .size:           8
        .value_kind:     by_value
      - .offset:         56
        .size:           8
        .value_kind:     by_value
      - .address_space:  global
        .offset:         64
        .size:           8
        .value_kind:     global_buffer
      - .offset:         72
        .size:           8
        .value_kind:     by_value
      - .offset:         80
        .size:           8
        .value_kind:     by_value
      - .offset:         88
        .size:           8
        .value_kind:     by_value
      - .address_space:  global
        .offset:         96
        .size:           8
        .value_kind:     global_buffer
      - .offset:         104
        .size:           8
        .value_kind:     by_value
      - .offset:         112
        .size:           8
        .value_kind:     by_value
      - .offset:         120
        .size:           8
        .value_kind:     by_value
      - .offset:         128
        .size:           4
        .value_kind:     by_value
      - .offset:         136
        .size:           4
        .value_kind:     hidden_block_count_x
      - .offset:         140
        .size:           4
        .value_kind:     hidden_block_count_y
      - .offset:         144
        .size:           4
        .value_kind:     hidden_block_count_z
      - .offset:         148
        .size:           2
        .value_kind:     hidden_group_size_x
      - .offset:         150
        .size:           2
        .value_kind:     hidden_group_size_y
      - .offset:         152
        .size:           2
        .value_kind:     hidden_group_size_z
      - .offset:         154
        .size:           2
        .value_kind:     hidden_remainder_x
      - .offset:         156
        .size:           2
        .value_kind:     hidden_remainder_y
      - .offset:         158
        .size:           2
        .value_kind:     hidden_remainder_z
      - .offset:         176
        .size:           8
        .value_kind:     hidden_global_offset_x
      - .offset:         184
        .size:           8
        .value_kind:     hidden_global_offset_y
      - .offset:         192
        .size:           8
        .value_kind:     hidden_global_offset_z
      - .offset:         200
        .size:           2
        .value_kind:     hidden_grid_dims
    .group_segment_fixed_size: 32768
    .kernarg_segment_align: 8
    .kernarg_segment_size: 392
    .language:       OpenCL C
    .language_version:
      - 2
      - 0
    .max_flat_workgroup_size: 1024
    .name:           _ZL24rocblas_symm_hemm_kernelILb0ELb0ELi32E19rocblas_complex_numIdEPKPKS1_PKPS1_EvbiiT2_T3_lllSA_lllT4_llli
    .private_segment_fixed_size: 0
    .sgpr_count:     48
    .sgpr_spill_count: 0
    .symbol:         _ZL24rocblas_symm_hemm_kernelILb0ELb0ELi32E19rocblas_complex_numIdEPKPKS1_PKPS1_EvbiiT2_T3_lllSA_lllT4_llli.kd
    .uniform_work_group_size: 1
    .uses_dynamic_stack: false
    .vgpr_count:     53
    .vgpr_spill_count: 0
    .wavefront_size: 32
    .workgroup_processor_mode: 1
  - .args:
      - .offset:         0
        .size:           1
        .value_kind:     by_value
      - .offset:         4
        .size:           4
        .value_kind:     by_value
      - .offset:         8
        .size:           4
        .value_kind:     by_value
      - .offset:         16
        .size:           16
        .value_kind:     by_value
      - .address_space:  global
        .offset:         32
        .size:           8
        .value_kind:     global_buffer
      - .offset:         40
        .size:           8
        .value_kind:     by_value
      - .offset:         48
        .size:           8
        .value_kind:     by_value
      - .offset:         56
        .size:           8
        .value_kind:     by_value
      - .address_space:  global
        .offset:         64
        .size:           8
        .value_kind:     global_buffer
      - .offset:         72
        .size:           8
        .value_kind:     by_value
      - .offset:         80
        .size:           8
        .value_kind:     by_value
      - .offset:         88
        .size:           8
        .value_kind:     by_value
      - .address_space:  global
        .offset:         96
        .size:           8
        .value_kind:     global_buffer
      - .offset:         104
        .size:           8
        .value_kind:     by_value
      - .offset:         112
        .size:           8
        .value_kind:     by_value
      - .offset:         120
        .size:           8
        .value_kind:     by_value
      - .offset:         128
        .size:           4
        .value_kind:     by_value
      - .offset:         136
        .size:           4
        .value_kind:     hidden_block_count_x
      - .offset:         140
        .size:           4
        .value_kind:     hidden_block_count_y
      - .offset:         144
        .size:           4
        .value_kind:     hidden_block_count_z
      - .offset:         148
        .size:           2
        .value_kind:     hidden_group_size_x
      - .offset:         150
        .size:           2
        .value_kind:     hidden_group_size_y
      - .offset:         152
        .size:           2
        .value_kind:     hidden_group_size_z
      - .offset:         154
        .size:           2
        .value_kind:     hidden_remainder_x
      - .offset:         156
        .size:           2
        .value_kind:     hidden_remainder_y
      - .offset:         158
        .size:           2
        .value_kind:     hidden_remainder_z
      - .offset:         176
        .size:           8
        .value_kind:     hidden_global_offset_x
      - .offset:         184
        .size:           8
        .value_kind:     hidden_global_offset_y
      - .offset:         192
        .size:           8
        .value_kind:     hidden_global_offset_z
      - .offset:         200
        .size:           2
        .value_kind:     hidden_grid_dims
    .group_segment_fixed_size: 32768
    .kernarg_segment_align: 8
    .kernarg_segment_size: 392
    .language:       OpenCL C
    .language_version:
      - 2
      - 0
    .max_flat_workgroup_size: 1024
    .name:           _ZL24rocblas_symm_hemm_kernelILb0ELb1ELi32E19rocblas_complex_numIdEPKPKS1_PKPS1_EvbiiT2_T3_lllSA_lllT4_llli
    .private_segment_fixed_size: 0
    .sgpr_count:     46
    .sgpr_spill_count: 0
    .symbol:         _ZL24rocblas_symm_hemm_kernelILb0ELb1ELi32E19rocblas_complex_numIdEPKPKS1_PKPS1_EvbiiT2_T3_lllSA_lllT4_llli.kd
    .uniform_work_group_size: 1
    .uses_dynamic_stack: false
    .vgpr_count:     53
    .vgpr_spill_count: 0
    .wavefront_size: 32
    .workgroup_processor_mode: 1
  - .args:
      - .offset:         0
        .size:           1
        .value_kind:     by_value
      - .offset:         4
        .size:           4
        .value_kind:     by_value
      - .offset:         8
        .size:           4
        .value_kind:     by_value
      - .address_space:  global
        .offset:         16
        .size:           8
        .value_kind:     global_buffer
      - .address_space:  global
        .offset:         24
        .size:           8
        .value_kind:     global_buffer
      - .offset:         32
        .size:           8
        .value_kind:     by_value
      - .offset:         40
        .size:           8
        .value_kind:     by_value
      - .offset:         48
        .size:           8
        .value_kind:     by_value
      - .address_space:  global
        .offset:         56
        .size:           8
        .value_kind:     global_buffer
      - .offset:         64
        .size:           8
        .value_kind:     by_value
      - .offset:         72
        .size:           8
        .value_kind:     by_value
      - .offset:         80
        .size:           8
        .value_kind:     by_value
      - .address_space:  global
        .offset:         88
        .size:           8
        .value_kind:     global_buffer
      - .offset:         96
        .size:           8
        .value_kind:     by_value
      - .offset:         104
        .size:           8
        .value_kind:     by_value
      - .offset:         112
        .size:           8
        .value_kind:     by_value
      - .offset:         120
        .size:           4
        .value_kind:     by_value
      - .offset:         128
        .size:           4
        .value_kind:     hidden_block_count_x
      - .offset:         132
        .size:           4
        .value_kind:     hidden_block_count_y
      - .offset:         136
        .size:           4
        .value_kind:     hidden_block_count_z
      - .offset:         140
        .size:           2
        .value_kind:     hidden_group_size_x
      - .offset:         142
        .size:           2
        .value_kind:     hidden_group_size_y
      - .offset:         144
        .size:           2
        .value_kind:     hidden_group_size_z
      - .offset:         146
        .size:           2
        .value_kind:     hidden_remainder_x
      - .offset:         148
        .size:           2
        .value_kind:     hidden_remainder_y
      - .offset:         150
        .size:           2
        .value_kind:     hidden_remainder_z
      - .offset:         168
        .size:           8
        .value_kind:     hidden_global_offset_x
      - .offset:         176
        .size:           8
        .value_kind:     hidden_global_offset_y
      - .offset:         184
        .size:           8
        .value_kind:     hidden_global_offset_z
      - .offset:         192
        .size:           2
        .value_kind:     hidden_grid_dims
    .group_segment_fixed_size: 16384
    .kernarg_segment_align: 8
    .kernarg_segment_size: 384
    .language:       OpenCL C
    .language_version:
      - 2
      - 0
    .max_flat_workgroup_size: 1024
    .name:           _ZL24rocblas_symm_hemm_kernelILb1ELb0ELi32EPK19rocblas_complex_numIfEPKS3_PKPS1_EvbiiT2_T3_lllSA_lllT4_llli
    .private_segment_fixed_size: 0
    .sgpr_count:     44
    .sgpr_spill_count: 0
    .symbol:         _ZL24rocblas_symm_hemm_kernelILb1ELb0ELi32EPK19rocblas_complex_numIfEPKS3_PKPS1_EvbiiT2_T3_lllSA_lllT4_llli.kd
    .uniform_work_group_size: 1
    .uses_dynamic_stack: false
    .vgpr_count:     145
    .vgpr_spill_count: 0
    .wavefront_size: 32
    .workgroup_processor_mode: 1
  - .args:
      - .offset:         0
        .size:           1
        .value_kind:     by_value
      - .offset:         4
        .size:           4
        .value_kind:     by_value
      - .offset:         8
        .size:           4
        .value_kind:     by_value
      - .address_space:  global
        .offset:         16
        .size:           8
        .value_kind:     global_buffer
      - .address_space:  global
        .offset:         24
        .size:           8
        .value_kind:     global_buffer
      - .offset:         32
        .size:           8
        .value_kind:     by_value
      - .offset:         40
        .size:           8
        .value_kind:     by_value
      - .offset:         48
        .size:           8
        .value_kind:     by_value
      - .address_space:  global
        .offset:         56
        .size:           8
        .value_kind:     global_buffer
      - .offset:         64
        .size:           8
        .value_kind:     by_value
      - .offset:         72
        .size:           8
        .value_kind:     by_value
      - .offset:         80
        .size:           8
        .value_kind:     by_value
      - .address_space:  global
        .offset:         88
        .size:           8
        .value_kind:     global_buffer
      - .offset:         96
        .size:           8
        .value_kind:     by_value
      - .offset:         104
        .size:           8
        .value_kind:     by_value
      - .offset:         112
        .size:           8
        .value_kind:     by_value
      - .offset:         120
        .size:           4
        .value_kind:     by_value
      - .offset:         128
        .size:           4
        .value_kind:     hidden_block_count_x
      - .offset:         132
        .size:           4
        .value_kind:     hidden_block_count_y
      - .offset:         136
        .size:           4
        .value_kind:     hidden_block_count_z
      - .offset:         140
        .size:           2
        .value_kind:     hidden_group_size_x
      - .offset:         142
        .size:           2
        .value_kind:     hidden_group_size_y
      - .offset:         144
        .size:           2
        .value_kind:     hidden_group_size_z
      - .offset:         146
        .size:           2
        .value_kind:     hidden_remainder_x
      - .offset:         148
        .size:           2
        .value_kind:     hidden_remainder_y
      - .offset:         150
        .size:           2
        .value_kind:     hidden_remainder_z
      - .offset:         168
        .size:           8
        .value_kind:     hidden_global_offset_x
      - .offset:         176
        .size:           8
        .value_kind:     hidden_global_offset_y
      - .offset:         184
        .size:           8
        .value_kind:     hidden_global_offset_z
      - .offset:         192
        .size:           2
        .value_kind:     hidden_grid_dims
    .group_segment_fixed_size: 16384
    .kernarg_segment_align: 8
    .kernarg_segment_size: 384
    .language:       OpenCL C
    .language_version:
      - 2
      - 0
    .max_flat_workgroup_size: 1024
    .name:           _ZL24rocblas_symm_hemm_kernelILb1ELb1ELi32EPK19rocblas_complex_numIfEPKS3_PKPS1_EvbiiT2_T3_lllSA_lllT4_llli
    .private_segment_fixed_size: 0
    .sgpr_count:     43
    .sgpr_spill_count: 0
    .symbol:         _ZL24rocblas_symm_hemm_kernelILb1ELb1ELi32EPK19rocblas_complex_numIfEPKS3_PKPS1_EvbiiT2_T3_lllSA_lllT4_llli.kd
    .uniform_work_group_size: 1
    .uses_dynamic_stack: false
    .vgpr_count:     146
    .vgpr_spill_count: 0
    .wavefront_size: 32
    .workgroup_processor_mode: 1
  - .args:
      - .offset:         0
        .size:           1
        .value_kind:     by_value
      - .offset:         4
        .size:           4
        .value_kind:     by_value
      - .offset:         8
        .size:           4
        .value_kind:     by_value
      - .offset:         12
        .size:           8
        .value_kind:     by_value
      - .address_space:  global
        .offset:         24
        .size:           8
        .value_kind:     global_buffer
      - .offset:         32
        .size:           8
        .value_kind:     by_value
      - .offset:         40
        .size:           8
        .value_kind:     by_value
      - .offset:         48
        .size:           8
        .value_kind:     by_value
      - .address_space:  global
        .offset:         56
        .size:           8
        .value_kind:     global_buffer
      - .offset:         64
        .size:           8
        .value_kind:     by_value
      - .offset:         72
        .size:           8
        .value_kind:     by_value
      - .offset:         80
        .size:           8
        .value_kind:     by_value
      - .address_space:  global
        .offset:         88
        .size:           8
        .value_kind:     global_buffer
      - .offset:         96
        .size:           8
        .value_kind:     by_value
      - .offset:         104
        .size:           8
        .value_kind:     by_value
      - .offset:         112
        .size:           8
        .value_kind:     by_value
      - .offset:         120
        .size:           4
        .value_kind:     by_value
      - .offset:         128
        .size:           4
        .value_kind:     hidden_block_count_x
      - .offset:         132
        .size:           4
        .value_kind:     hidden_block_count_y
      - .offset:         136
        .size:           4
        .value_kind:     hidden_block_count_z
      - .offset:         140
        .size:           2
        .value_kind:     hidden_group_size_x
      - .offset:         142
        .size:           2
        .value_kind:     hidden_group_size_y
      - .offset:         144
        .size:           2
        .value_kind:     hidden_group_size_z
      - .offset:         146
        .size:           2
        .value_kind:     hidden_remainder_x
      - .offset:         148
        .size:           2
        .value_kind:     hidden_remainder_y
      - .offset:         150
        .size:           2
        .value_kind:     hidden_remainder_z
      - .offset:         168
        .size:           8
        .value_kind:     hidden_global_offset_x
      - .offset:         176
        .size:           8
        .value_kind:     hidden_global_offset_y
      - .offset:         184
        .size:           8
        .value_kind:     hidden_global_offset_z
      - .offset:         192
        .size:           2
        .value_kind:     hidden_grid_dims
    .group_segment_fixed_size: 16384
    .kernarg_segment_align: 8
    .kernarg_segment_size: 384
    .language:       OpenCL C
    .language_version:
      - 2
      - 0
    .max_flat_workgroup_size: 1024
    .name:           _ZL24rocblas_symm_hemm_kernelILb1ELb0ELi32E19rocblas_complex_numIfEPKPKS1_PKPS1_EvbiiT2_T3_lllSA_lllT4_llli
    .private_segment_fixed_size: 0
    .sgpr_count:     44
    .sgpr_spill_count: 0
    .symbol:         _ZL24rocblas_symm_hemm_kernelILb1ELb0ELi32E19rocblas_complex_numIfEPKPKS1_PKPS1_EvbiiT2_T3_lllSA_lllT4_llli.kd
    .uniform_work_group_size: 1
    .uses_dynamic_stack: false
    .vgpr_count:     145
    .vgpr_spill_count: 0
    .wavefront_size: 32
    .workgroup_processor_mode: 1
  - .args:
      - .offset:         0
        .size:           1
        .value_kind:     by_value
      - .offset:         4
        .size:           4
        .value_kind:     by_value
      - .offset:         8
        .size:           4
        .value_kind:     by_value
      - .offset:         12
        .size:           8
        .value_kind:     by_value
      - .address_space:  global
        .offset:         24
        .size:           8
        .value_kind:     global_buffer
      - .offset:         32
        .size:           8
        .value_kind:     by_value
      - .offset:         40
        .size:           8
        .value_kind:     by_value
      - .offset:         48
        .size:           8
        .value_kind:     by_value
      - .address_space:  global
        .offset:         56
        .size:           8
        .value_kind:     global_buffer
      - .offset:         64
        .size:           8
        .value_kind:     by_value
      - .offset:         72
        .size:           8
        .value_kind:     by_value
      - .offset:         80
        .size:           8
        .value_kind:     by_value
      - .address_space:  global
        .offset:         88
        .size:           8
        .value_kind:     global_buffer
      - .offset:         96
        .size:           8
        .value_kind:     by_value
      - .offset:         104
        .size:           8
        .value_kind:     by_value
      - .offset:         112
        .size:           8
        .value_kind:     by_value
      - .offset:         120
        .size:           4
        .value_kind:     by_value
      - .offset:         128
        .size:           4
        .value_kind:     hidden_block_count_x
      - .offset:         132
        .size:           4
        .value_kind:     hidden_block_count_y
      - .offset:         136
        .size:           4
        .value_kind:     hidden_block_count_z
      - .offset:         140
        .size:           2
        .value_kind:     hidden_group_size_x
      - .offset:         142
        .size:           2
        .value_kind:     hidden_group_size_y
      - .offset:         144
        .size:           2
        .value_kind:     hidden_group_size_z
      - .offset:         146
        .size:           2
        .value_kind:     hidden_remainder_x
      - .offset:         148
        .size:           2
        .value_kind:     hidden_remainder_y
      - .offset:         150
        .size:           2
        .value_kind:     hidden_remainder_z
      - .offset:         168
        .size:           8
        .value_kind:     hidden_global_offset_x
      - .offset:         176
        .size:           8
        .value_kind:     hidden_global_offset_y
      - .offset:         184
        .size:           8
        .value_kind:     hidden_global_offset_z
      - .offset:         192
        .size:           2
        .value_kind:     hidden_grid_dims
    .group_segment_fixed_size: 16384
    .kernarg_segment_align: 8
    .kernarg_segment_size: 384
    .language:       OpenCL C
    .language_version:
      - 2
      - 0
    .max_flat_workgroup_size: 1024
    .name:           _ZL24rocblas_symm_hemm_kernelILb1ELb1ELi32E19rocblas_complex_numIfEPKPKS1_PKPS1_EvbiiT2_T3_lllSA_lllT4_llli
    .private_segment_fixed_size: 0
    .sgpr_count:     43
    .sgpr_spill_count: 0
    .symbol:         _ZL24rocblas_symm_hemm_kernelILb1ELb1ELi32E19rocblas_complex_numIfEPKPKS1_PKPS1_EvbiiT2_T3_lllSA_lllT4_llli.kd
    .uniform_work_group_size: 1
    .uses_dynamic_stack: false
    .vgpr_count:     146
    .vgpr_spill_count: 0
    .wavefront_size: 32
    .workgroup_processor_mode: 1
  - .args:
      - .offset:         0
        .size:           1
        .value_kind:     by_value
      - .offset:         4
        .size:           4
        .value_kind:     by_value
      - .offset:         8
        .size:           4
        .value_kind:     by_value
      - .address_space:  global
        .offset:         16
        .size:           8
        .value_kind:     global_buffer
      - .address_space:  global
        .offset:         24
        .size:           8
        .value_kind:     global_buffer
      - .offset:         32
        .size:           8
        .value_kind:     by_value
      - .offset:         40
        .size:           8
        .value_kind:     by_value
      - .offset:         48
        .size:           8
        .value_kind:     by_value
      - .address_space:  global
        .offset:         56
        .size:           8
        .value_kind:     global_buffer
      - .offset:         64
        .size:           8
        .value_kind:     by_value
      - .offset:         72
        .size:           8
        .value_kind:     by_value
      - .offset:         80
        .size:           8
        .value_kind:     by_value
      - .address_space:  global
        .offset:         88
        .size:           8
        .value_kind:     global_buffer
      - .offset:         96
        .size:           8
        .value_kind:     by_value
      - .offset:         104
        .size:           8
        .value_kind:     by_value
      - .offset:         112
        .size:           8
        .value_kind:     by_value
      - .offset:         120
        .size:           4
        .value_kind:     by_value
      - .offset:         128
        .size:           4
        .value_kind:     hidden_block_count_x
      - .offset:         132
        .size:           4
        .value_kind:     hidden_block_count_y
      - .offset:         136
        .size:           4
        .value_kind:     hidden_block_count_z
      - .offset:         140
        .size:           2
        .value_kind:     hidden_group_size_x
      - .offset:         142
        .size:           2
        .value_kind:     hidden_group_size_y
      - .offset:         144
        .size:           2
        .value_kind:     hidden_group_size_z
      - .offset:         146
        .size:           2
        .value_kind:     hidden_remainder_x
      - .offset:         148
        .size:           2
        .value_kind:     hidden_remainder_y
      - .offset:         150
        .size:           2
        .value_kind:     hidden_remainder_z
      - .offset:         168
        .size:           8
        .value_kind:     hidden_global_offset_x
      - .offset:         176
        .size:           8
        .value_kind:     hidden_global_offset_y
      - .offset:         184
        .size:           8
        .value_kind:     hidden_global_offset_z
      - .offset:         192
        .size:           2
        .value_kind:     hidden_grid_dims
    .group_segment_fixed_size: 32768
    .kernarg_segment_align: 8
    .kernarg_segment_size: 384
    .language:       OpenCL C
    .language_version:
      - 2
      - 0
    .max_flat_workgroup_size: 1024
    .name:           _ZL24rocblas_symm_hemm_kernelILb1ELb0ELi32EPK19rocblas_complex_numIdEPKS3_PKPS1_EvbiiT2_T3_lllSA_lllT4_llli
    .private_segment_fixed_size: 0
    .sgpr_count:     48
    .sgpr_spill_count: 0
    .symbol:         _ZL24rocblas_symm_hemm_kernelILb1ELb0ELi32EPK19rocblas_complex_numIdEPKS3_PKPS1_EvbiiT2_T3_lllSA_lllT4_llli.kd
    .uniform_work_group_size: 1
    .uses_dynamic_stack: false
    .vgpr_count:     61
    .vgpr_spill_count: 0
    .wavefront_size: 32
    .workgroup_processor_mode: 1
  - .args:
      - .offset:         0
        .size:           1
        .value_kind:     by_value
      - .offset:         4
        .size:           4
        .value_kind:     by_value
      - .offset:         8
        .size:           4
        .value_kind:     by_value
      - .address_space:  global
        .offset:         16
        .size:           8
        .value_kind:     global_buffer
      - .address_space:  global
        .offset:         24
        .size:           8
        .value_kind:     global_buffer
      - .offset:         32
        .size:           8
        .value_kind:     by_value
      - .offset:         40
        .size:           8
        .value_kind:     by_value
      - .offset:         48
        .size:           8
        .value_kind:     by_value
      - .address_space:  global
        .offset:         56
        .size:           8
        .value_kind:     global_buffer
      - .offset:         64
        .size:           8
        .value_kind:     by_value
      - .offset:         72
        .size:           8
        .value_kind:     by_value
      - .offset:         80
        .size:           8
        .value_kind:     by_value
      - .address_space:  global
        .offset:         88
        .size:           8
        .value_kind:     global_buffer
      - .offset:         96
        .size:           8
        .value_kind:     by_value
      - .offset:         104
        .size:           8
        .value_kind:     by_value
      - .offset:         112
        .size:           8
        .value_kind:     by_value
      - .offset:         120
        .size:           4
        .value_kind:     by_value
      - .offset:         128
        .size:           4
        .value_kind:     hidden_block_count_x
      - .offset:         132
        .size:           4
        .value_kind:     hidden_block_count_y
      - .offset:         136
        .size:           4
        .value_kind:     hidden_block_count_z
      - .offset:         140
        .size:           2
        .value_kind:     hidden_group_size_x
      - .offset:         142
        .size:           2
        .value_kind:     hidden_group_size_y
      - .offset:         144
        .size:           2
        .value_kind:     hidden_group_size_z
      - .offset:         146
        .size:           2
        .value_kind:     hidden_remainder_x
      - .offset:         148
        .size:           2
        .value_kind:     hidden_remainder_y
      - .offset:         150
        .size:           2
        .value_kind:     hidden_remainder_z
      - .offset:         168
        .size:           8
        .value_kind:     hidden_global_offset_x
      - .offset:         176
        .size:           8
        .value_kind:     hidden_global_offset_y
      - .offset:         184
        .size:           8
        .value_kind:     hidden_global_offset_z
      - .offset:         192
        .size:           2
        .value_kind:     hidden_grid_dims
    .group_segment_fixed_size: 32768
    .kernarg_segment_align: 8
    .kernarg_segment_size: 384
    .language:       OpenCL C
    .language_version:
      - 2
      - 0
    .max_flat_workgroup_size: 1024
    .name:           _ZL24rocblas_symm_hemm_kernelILb1ELb1ELi32EPK19rocblas_complex_numIdEPKS3_PKPS1_EvbiiT2_T3_lllSA_lllT4_llli
    .private_segment_fixed_size: 0
    .sgpr_count:     46
    .sgpr_spill_count: 0
    .symbol:         _ZL24rocblas_symm_hemm_kernelILb1ELb1ELi32EPK19rocblas_complex_numIdEPKS3_PKPS1_EvbiiT2_T3_lllSA_lllT4_llli.kd
    .uniform_work_group_size: 1
    .uses_dynamic_stack: false
    .vgpr_count:     59
    .vgpr_spill_count: 0
    .wavefront_size: 32
    .workgroup_processor_mode: 1
  - .args:
      - .offset:         0
        .size:           1
        .value_kind:     by_value
      - .offset:         4
        .size:           4
        .value_kind:     by_value
      - .offset:         8
        .size:           4
        .value_kind:     by_value
      - .offset:         16
        .size:           16
        .value_kind:     by_value
      - .address_space:  global
        .offset:         32
        .size:           8
        .value_kind:     global_buffer
      - .offset:         40
        .size:           8
        .value_kind:     by_value
      - .offset:         48
        .size:           8
        .value_kind:     by_value
      - .offset:         56
        .size:           8
        .value_kind:     by_value
      - .address_space:  global
        .offset:         64
        .size:           8
        .value_kind:     global_buffer
      - .offset:         72
        .size:           8
        .value_kind:     by_value
      - .offset:         80
        .size:           8
        .value_kind:     by_value
      - .offset:         88
        .size:           8
        .value_kind:     by_value
      - .address_space:  global
        .offset:         96
        .size:           8
        .value_kind:     global_buffer
      - .offset:         104
        .size:           8
        .value_kind:     by_value
      - .offset:         112
        .size:           8
        .value_kind:     by_value
      - .offset:         120
        .size:           8
        .value_kind:     by_value
      - .offset:         128
        .size:           4
        .value_kind:     by_value
      - .offset:         136
        .size:           4
        .value_kind:     hidden_block_count_x
      - .offset:         140
        .size:           4
        .value_kind:     hidden_block_count_y
      - .offset:         144
        .size:           4
        .value_kind:     hidden_block_count_z
      - .offset:         148
        .size:           2
        .value_kind:     hidden_group_size_x
      - .offset:         150
        .size:           2
        .value_kind:     hidden_group_size_y
      - .offset:         152
        .size:           2
        .value_kind:     hidden_group_size_z
      - .offset:         154
        .size:           2
        .value_kind:     hidden_remainder_x
      - .offset:         156
        .size:           2
        .value_kind:     hidden_remainder_y
      - .offset:         158
        .size:           2
        .value_kind:     hidden_remainder_z
      - .offset:         176
        .size:           8
        .value_kind:     hidden_global_offset_x
      - .offset:         184
        .size:           8
        .value_kind:     hidden_global_offset_y
      - .offset:         192
        .size:           8
        .value_kind:     hidden_global_offset_z
      - .offset:         200
        .size:           2
        .value_kind:     hidden_grid_dims
    .group_segment_fixed_size: 32768
    .kernarg_segment_align: 8
    .kernarg_segment_size: 392
    .language:       OpenCL C
    .language_version:
      - 2
      - 0
    .max_flat_workgroup_size: 1024
    .name:           _ZL24rocblas_symm_hemm_kernelILb1ELb0ELi32E19rocblas_complex_numIdEPKPKS1_PKPS1_EvbiiT2_T3_lllSA_lllT4_llli
    .private_segment_fixed_size: 0
    .sgpr_count:     48
    .sgpr_spill_count: 0
    .symbol:         _ZL24rocblas_symm_hemm_kernelILb1ELb0ELi32E19rocblas_complex_numIdEPKPKS1_PKPS1_EvbiiT2_T3_lllSA_lllT4_llli.kd
    .uniform_work_group_size: 1
    .uses_dynamic_stack: false
    .vgpr_count:     61
    .vgpr_spill_count: 0
    .wavefront_size: 32
    .workgroup_processor_mode: 1
  - .args:
      - .offset:         0
        .size:           1
        .value_kind:     by_value
      - .offset:         4
        .size:           4
        .value_kind:     by_value
      - .offset:         8
        .size:           4
        .value_kind:     by_value
      - .offset:         16
        .size:           16
        .value_kind:     by_value
      - .address_space:  global
        .offset:         32
        .size:           8
        .value_kind:     global_buffer
      - .offset:         40
        .size:           8
        .value_kind:     by_value
      - .offset:         48
        .size:           8
        .value_kind:     by_value
      - .offset:         56
        .size:           8
        .value_kind:     by_value
      - .address_space:  global
        .offset:         64
        .size:           8
        .value_kind:     global_buffer
      - .offset:         72
        .size:           8
        .value_kind:     by_value
      - .offset:         80
        .size:           8
        .value_kind:     by_value
      - .offset:         88
        .size:           8
        .value_kind:     by_value
      - .address_space:  global
        .offset:         96
        .size:           8
        .value_kind:     global_buffer
      - .offset:         104
        .size:           8
        .value_kind:     by_value
      - .offset:         112
        .size:           8
        .value_kind:     by_value
      - .offset:         120
        .size:           8
        .value_kind:     by_value
      - .offset:         128
        .size:           4
        .value_kind:     by_value
      - .offset:         136
        .size:           4
        .value_kind:     hidden_block_count_x
      - .offset:         140
        .size:           4
        .value_kind:     hidden_block_count_y
      - .offset:         144
        .size:           4
        .value_kind:     hidden_block_count_z
      - .offset:         148
        .size:           2
        .value_kind:     hidden_group_size_x
      - .offset:         150
        .size:           2
        .value_kind:     hidden_group_size_y
      - .offset:         152
        .size:           2
        .value_kind:     hidden_group_size_z
      - .offset:         154
        .size:           2
        .value_kind:     hidden_remainder_x
      - .offset:         156
        .size:           2
        .value_kind:     hidden_remainder_y
      - .offset:         158
        .size:           2
        .value_kind:     hidden_remainder_z
      - .offset:         176
        .size:           8
        .value_kind:     hidden_global_offset_x
      - .offset:         184
        .size:           8
        .value_kind:     hidden_global_offset_y
      - .offset:         192
        .size:           8
        .value_kind:     hidden_global_offset_z
      - .offset:         200
        .size:           2
        .value_kind:     hidden_grid_dims
    .group_segment_fixed_size: 32768
    .kernarg_segment_align: 8
    .kernarg_segment_size: 392
    .language:       OpenCL C
    .language_version:
      - 2
      - 0
    .max_flat_workgroup_size: 1024
    .name:           _ZL24rocblas_symm_hemm_kernelILb1ELb1ELi32E19rocblas_complex_numIdEPKPKS1_PKPS1_EvbiiT2_T3_lllSA_lllT4_llli
    .private_segment_fixed_size: 0
    .sgpr_count:     46
    .sgpr_spill_count: 0
    .symbol:         _ZL24rocblas_symm_hemm_kernelILb1ELb1ELi32E19rocblas_complex_numIdEPKPKS1_PKPS1_EvbiiT2_T3_lllSA_lllT4_llli.kd
    .uniform_work_group_size: 1
    .uses_dynamic_stack: false
    .vgpr_count:     59
    .vgpr_spill_count: 0
    .wavefront_size: 32
    .workgroup_processor_mode: 1
amdhsa.target:   amdgcn-amd-amdhsa--gfx1201
amdhsa.version:
  - 1
  - 2
...

	.end_amdgpu_metadata
